;; amdgpu-corpus repo=ROCm/rocFFT kind=compiled arch=gfx906 opt=O3
	.text
	.amdgcn_target "amdgcn-amd-amdhsa--gfx906"
	.amdhsa_code_object_version 6
	.protected	fft_rtc_back_len3200_factors_10_10_4_4_2_wgs_160_tpt_160_halfLds_dp_ip_CI_unitstride_sbrr_C2R_dirReg ; -- Begin function fft_rtc_back_len3200_factors_10_10_4_4_2_wgs_160_tpt_160_halfLds_dp_ip_CI_unitstride_sbrr_C2R_dirReg
	.globl	fft_rtc_back_len3200_factors_10_10_4_4_2_wgs_160_tpt_160_halfLds_dp_ip_CI_unitstride_sbrr_C2R_dirReg
	.p2align	8
	.type	fft_rtc_back_len3200_factors_10_10_4_4_2_wgs_160_tpt_160_halfLds_dp_ip_CI_unitstride_sbrr_C2R_dirReg,@function
fft_rtc_back_len3200_factors_10_10_4_4_2_wgs_160_tpt_160_halfLds_dp_ip_CI_unitstride_sbrr_C2R_dirReg: ; @fft_rtc_back_len3200_factors_10_10_4_4_2_wgs_160_tpt_160_halfLds_dp_ip_CI_unitstride_sbrr_C2R_dirReg
; %bb.0:
	s_load_dwordx2 s[10:11], s[4:5], 0x50
	s_load_dwordx4 s[12:15], s[4:5], 0x0
	s_load_dwordx2 s[2:3], s[4:5], 0x18
	v_mul_u32_u24_e32 v1, 0x19a, v0
	v_add_u32_sdwa v5, s6, v1 dst_sel:DWORD dst_unused:UNUSED_PAD src0_sel:DWORD src1_sel:WORD_1
	v_mov_b32_e32 v3, 0
	s_waitcnt lgkmcnt(0)
	v_cmp_lt_u64_e64 s[0:1], s[14:15], 2
	v_mov_b32_e32 v1, 0
	v_mov_b32_e32 v6, v3
	s_and_b64 vcc, exec, s[0:1]
	v_mov_b32_e32 v2, 0
	s_cbranch_vccnz .LBB0_8
; %bb.1:
	s_load_dwordx2 s[0:1], s[4:5], 0x10
	s_add_u32 s6, s2, 8
	s_addc_u32 s7, s3, 0
	v_mov_b32_e32 v1, 0
	v_mov_b32_e32 v2, 0
	s_waitcnt lgkmcnt(0)
	s_add_u32 s8, s0, 8
	s_addc_u32 s9, s1, 0
	s_mov_b64 s[16:17], 1
.LBB0_2:                                ; =>This Inner Loop Header: Depth=1
	s_load_dwordx2 s[18:19], s[8:9], 0x0
                                        ; implicit-def: $vgpr7_vgpr8
	s_waitcnt lgkmcnt(0)
	v_or_b32_e32 v4, s19, v6
	v_cmp_ne_u64_e32 vcc, 0, v[3:4]
	s_and_saveexec_b64 s[0:1], vcc
	s_xor_b64 s[20:21], exec, s[0:1]
	s_cbranch_execz .LBB0_4
; %bb.3:                                ;   in Loop: Header=BB0_2 Depth=1
	v_cvt_f32_u32_e32 v4, s18
	v_cvt_f32_u32_e32 v7, s19
	s_sub_u32 s0, 0, s18
	s_subb_u32 s1, 0, s19
	v_mac_f32_e32 v4, 0x4f800000, v7
	v_rcp_f32_e32 v4, v4
	v_mul_f32_e32 v4, 0x5f7ffffc, v4
	v_mul_f32_e32 v7, 0x2f800000, v4
	v_trunc_f32_e32 v7, v7
	v_mac_f32_e32 v4, 0xcf800000, v7
	v_cvt_u32_f32_e32 v7, v7
	v_cvt_u32_f32_e32 v4, v4
	v_mul_lo_u32 v8, s0, v7
	v_mul_hi_u32 v9, s0, v4
	v_mul_lo_u32 v11, s1, v4
	v_mul_lo_u32 v10, s0, v4
	v_add_u32_e32 v8, v9, v8
	v_add_u32_e32 v8, v8, v11
	v_mul_hi_u32 v9, v4, v10
	v_mul_lo_u32 v11, v4, v8
	v_mul_hi_u32 v13, v4, v8
	v_mul_hi_u32 v12, v7, v10
	v_mul_lo_u32 v10, v7, v10
	v_mul_hi_u32 v14, v7, v8
	v_add_co_u32_e32 v9, vcc, v9, v11
	v_addc_co_u32_e32 v11, vcc, 0, v13, vcc
	v_mul_lo_u32 v8, v7, v8
	v_add_co_u32_e32 v9, vcc, v9, v10
	v_addc_co_u32_e32 v9, vcc, v11, v12, vcc
	v_addc_co_u32_e32 v10, vcc, 0, v14, vcc
	v_add_co_u32_e32 v8, vcc, v9, v8
	v_addc_co_u32_e32 v9, vcc, 0, v10, vcc
	v_add_co_u32_e32 v4, vcc, v4, v8
	v_addc_co_u32_e32 v7, vcc, v7, v9, vcc
	v_mul_lo_u32 v8, s0, v7
	v_mul_hi_u32 v9, s0, v4
	v_mul_lo_u32 v10, s1, v4
	v_mul_lo_u32 v11, s0, v4
	v_add_u32_e32 v8, v9, v8
	v_add_u32_e32 v8, v8, v10
	v_mul_lo_u32 v12, v4, v8
	v_mul_hi_u32 v13, v4, v11
	v_mul_hi_u32 v14, v4, v8
	;; [unrolled: 1-line block ×3, first 2 shown]
	v_mul_lo_u32 v11, v7, v11
	v_mul_hi_u32 v9, v7, v8
	v_add_co_u32_e32 v12, vcc, v13, v12
	v_addc_co_u32_e32 v13, vcc, 0, v14, vcc
	v_mul_lo_u32 v8, v7, v8
	v_add_co_u32_e32 v11, vcc, v12, v11
	v_addc_co_u32_e32 v10, vcc, v13, v10, vcc
	v_addc_co_u32_e32 v9, vcc, 0, v9, vcc
	v_add_co_u32_e32 v8, vcc, v10, v8
	v_addc_co_u32_e32 v9, vcc, 0, v9, vcc
	v_add_co_u32_e32 v4, vcc, v4, v8
	v_addc_co_u32_e32 v9, vcc, v7, v9, vcc
	v_mad_u64_u32 v[7:8], s[0:1], v5, v9, 0
	v_mul_hi_u32 v10, v5, v4
	v_add_co_u32_e32 v11, vcc, v10, v7
	v_addc_co_u32_e32 v12, vcc, 0, v8, vcc
	v_mad_u64_u32 v[7:8], s[0:1], v6, v4, 0
	v_mad_u64_u32 v[9:10], s[0:1], v6, v9, 0
	v_add_co_u32_e32 v4, vcc, v11, v7
	v_addc_co_u32_e32 v4, vcc, v12, v8, vcc
	v_addc_co_u32_e32 v7, vcc, 0, v10, vcc
	v_add_co_u32_e32 v4, vcc, v4, v9
	v_addc_co_u32_e32 v9, vcc, 0, v7, vcc
	v_mul_lo_u32 v10, s19, v4
	v_mul_lo_u32 v11, s18, v9
	v_mad_u64_u32 v[7:8], s[0:1], s18, v4, 0
	v_add3_u32 v8, v8, v11, v10
	v_sub_u32_e32 v10, v6, v8
	v_mov_b32_e32 v11, s19
	v_sub_co_u32_e32 v7, vcc, v5, v7
	v_subb_co_u32_e64 v10, s[0:1], v10, v11, vcc
	v_subrev_co_u32_e64 v11, s[0:1], s18, v7
	v_subbrev_co_u32_e64 v10, s[0:1], 0, v10, s[0:1]
	v_cmp_le_u32_e64 s[0:1], s19, v10
	v_cndmask_b32_e64 v12, 0, -1, s[0:1]
	v_cmp_le_u32_e64 s[0:1], s18, v11
	v_cndmask_b32_e64 v11, 0, -1, s[0:1]
	v_cmp_eq_u32_e64 s[0:1], s19, v10
	v_cndmask_b32_e64 v10, v12, v11, s[0:1]
	v_add_co_u32_e64 v11, s[0:1], 2, v4
	v_addc_co_u32_e64 v12, s[0:1], 0, v9, s[0:1]
	v_add_co_u32_e64 v13, s[0:1], 1, v4
	v_addc_co_u32_e64 v14, s[0:1], 0, v9, s[0:1]
	v_subb_co_u32_e32 v8, vcc, v6, v8, vcc
	v_cmp_ne_u32_e64 s[0:1], 0, v10
	v_cmp_le_u32_e32 vcc, s19, v8
	v_cndmask_b32_e64 v10, v14, v12, s[0:1]
	v_cndmask_b32_e64 v12, 0, -1, vcc
	v_cmp_le_u32_e32 vcc, s18, v7
	v_cndmask_b32_e64 v7, 0, -1, vcc
	v_cmp_eq_u32_e32 vcc, s19, v8
	v_cndmask_b32_e32 v7, v12, v7, vcc
	v_cmp_ne_u32_e32 vcc, 0, v7
	v_cndmask_b32_e64 v7, v13, v11, s[0:1]
	v_cndmask_b32_e32 v8, v9, v10, vcc
	v_cndmask_b32_e32 v7, v4, v7, vcc
.LBB0_4:                                ;   in Loop: Header=BB0_2 Depth=1
	s_andn2_saveexec_b64 s[0:1], s[20:21]
	s_cbranch_execz .LBB0_6
; %bb.5:                                ;   in Loop: Header=BB0_2 Depth=1
	v_cvt_f32_u32_e32 v4, s18
	s_sub_i32 s20, 0, s18
	v_rcp_iflag_f32_e32 v4, v4
	v_mul_f32_e32 v4, 0x4f7ffffe, v4
	v_cvt_u32_f32_e32 v4, v4
	v_mul_lo_u32 v7, s20, v4
	v_mul_hi_u32 v7, v4, v7
	v_add_u32_e32 v4, v4, v7
	v_mul_hi_u32 v4, v5, v4
	v_mul_lo_u32 v7, v4, s18
	v_add_u32_e32 v8, 1, v4
	v_sub_u32_e32 v7, v5, v7
	v_subrev_u32_e32 v9, s18, v7
	v_cmp_le_u32_e32 vcc, s18, v7
	v_cndmask_b32_e32 v7, v7, v9, vcc
	v_cndmask_b32_e32 v4, v4, v8, vcc
	v_add_u32_e32 v8, 1, v4
	v_cmp_le_u32_e32 vcc, s18, v7
	v_cndmask_b32_e32 v7, v4, v8, vcc
	v_mov_b32_e32 v8, v3
.LBB0_6:                                ;   in Loop: Header=BB0_2 Depth=1
	s_or_b64 exec, exec, s[0:1]
	v_mul_lo_u32 v4, v8, s18
	v_mul_lo_u32 v11, v7, s19
	v_mad_u64_u32 v[9:10], s[0:1], v7, s18, 0
	s_load_dwordx2 s[0:1], s[6:7], 0x0
	s_add_u32 s16, s16, 1
	v_add3_u32 v4, v10, v11, v4
	v_sub_co_u32_e32 v5, vcc, v5, v9
	v_subb_co_u32_e32 v4, vcc, v6, v4, vcc
	s_waitcnt lgkmcnt(0)
	v_mul_lo_u32 v4, s0, v4
	v_mul_lo_u32 v6, s1, v5
	v_mad_u64_u32 v[1:2], s[0:1], s0, v5, v[1:2]
	s_addc_u32 s17, s17, 0
	s_add_u32 s6, s6, 8
	v_add3_u32 v2, v6, v2, v4
	v_mov_b32_e32 v4, s14
	v_mov_b32_e32 v5, s15
	s_addc_u32 s7, s7, 0
	v_cmp_ge_u64_e32 vcc, s[16:17], v[4:5]
	s_add_u32 s8, s8, 8
	s_addc_u32 s9, s9, 0
	s_cbranch_vccnz .LBB0_9
; %bb.7:                                ;   in Loop: Header=BB0_2 Depth=1
	v_mov_b32_e32 v5, v7
	v_mov_b32_e32 v6, v8
	s_branch .LBB0_2
.LBB0_8:
	v_mov_b32_e32 v8, v6
	v_mov_b32_e32 v7, v5
.LBB0_9:
	s_lshl_b64 s[0:1], s[14:15], 3
	s_add_u32 s0, s2, s0
	s_addc_u32 s1, s3, s1
	s_load_dwordx2 s[2:3], s[0:1], 0x0
	s_load_dwordx2 s[6:7], s[4:5], 0x20
	s_waitcnt lgkmcnt(0)
	v_mad_u64_u32 v[1:2], s[0:1], s2, v7, v[1:2]
	s_mov_b32 s0, 0x199999a
	v_mul_lo_u32 v3, s2, v8
	v_mul_lo_u32 v4, s3, v7
	v_mul_hi_u32 v5, v0, s0
	v_cmp_gt_u64_e64 s[0:1], s[6:7], v[7:8]
	v_add3_u32 v2, v4, v2, v3
	v_mul_u32_u24_e32 v3, 0xa0, v5
	v_sub_u32_e32 v4, v0, v3
	v_lshlrev_b64 v[82:83], 4, v[1:2]
	v_mov_b32_e32 v5, 0
	v_mov_b32_e32 v80, v4
	s_and_saveexec_b64 s[14:15], s[0:1]
	s_cbranch_execz .LBB0_13
; %bb.10:
	v_mov_b32_e32 v0, s11
	v_add_co_u32_e32 v3, vcc, s10, v82
	v_addc_co_u32_e32 v2, vcc, v0, v83, vcc
	v_lshlrev_b64 v[0:1], 4, v[4:5]
	v_or_b32_e32 v14, 0x500, v4
	v_mov_b32_e32 v15, v5
	v_lshlrev_b64 v[14:15], 4, v[14:15]
	v_add_co_u32_e32 v0, vcc, v3, v0
	v_addc_co_u32_e32 v1, vcc, v2, v1, vcc
	v_add_co_u32_e64 v22, s[2:3], v3, v14
	v_add_co_u32_e32 v30, vcc, 0x1000, v0
	v_addc_co_u32_e64 v23, s[2:3], v2, v15, s[2:3]
	s_mov_b64 s[2:3], vcc
	v_add_co_u32_e32 v38, vcc, 0x2000, v0
	s_mov_b64 s[4:5], vcc
	v_add_co_u32_e32 v46, vcc, 0x3000, v0
	s_movk_i32 s16, 0x5000
	s_mov_b64 s[6:7], vcc
	v_add_co_u32_e32 v48, vcc, 0x4000, v0
	s_mov_b64 s[8:9], vcc
	v_add_co_u32_e32 v24, vcc, s16, v0
	v_addc_co_u32_e32 v25, vcc, 0, v1, vcc
	v_addc_co_u32_e64 v31, vcc, 0, v1, s[2:3]
	v_addc_co_u32_e64 v39, vcc, 0, v1, s[4:5]
	;; [unrolled: 1-line block ×4, first 2 shown]
	s_movk_i32 s2, 0x6000
	v_add_co_u32_e32 v54, vcc, s2, v0
	v_addc_co_u32_e32 v55, vcc, 0, v1, vcc
	s_movk_i32 s2, 0x7000
	v_add_co_u32_e32 v62, vcc, s2, v0
	v_addc_co_u32_e32 v63, vcc, 0, v1, vcc
	s_mov_b32 s2, 0x8000
	v_add_co_u32_e32 v70, vcc, s2, v0
	v_addc_co_u32_e32 v71, vcc, 0, v1, vcc
	s_mov_b32 s2, 0x9000
	v_add_co_u32_e32 v72, vcc, s2, v0
	global_load_dwordx4 v[6:9], v[0:1], off
	global_load_dwordx4 v[10:13], v[0:1], off offset:2560
	global_load_dwordx4 v[14:17], v[22:23], off
	global_load_dwordx4 v[18:21], v[24:25], off offset:2560
	s_nop 0
	global_load_dwordx4 v[22:25], v[30:31], off offset:1024
	global_load_dwordx4 v[26:29], v[30:31], off offset:3584
	s_nop 0
	global_load_dwordx4 v[30:33], v[38:39], off offset:2048
	;; [unrolled: 3-line block ×5, first 2 shown]
	global_load_dwordx4 v[58:61], v[70:71], off offset:512
	v_addc_co_u32_e32 v73, vcc, 0, v1, vcc
	global_load_dwordx4 v[62:65], v[70:71], off offset:3072
	global_load_dwordx4 v[66:69], v[72:73], off offset:1536
	v_or_b32_e32 v70, 0xa00, v4
	v_mov_b32_e32 v71, v5
	v_lshlrev_b64 v[70:71], 4, v[70:71]
	s_mov_b32 s2, 0xa000
	v_add_co_u32_e32 v78, vcc, v3, v70
	v_addc_co_u32_e32 v79, vcc, v2, v71, vcc
	v_add_co_u32_e32 v80, vcc, s2, v0
	v_addc_co_u32_e32 v81, vcc, 0, v1, vcc
	;; [unrolled: 2-line block ×3, first 2 shown]
	global_load_dwordx4 v[70:73], v[78:79], off
	global_load_dwordx4 v[74:77], v[80:81], off offset:2560
	s_nop 0
	global_load_dwordx4 v[78:81], v[0:1], off offset:1024
	global_load_dwordx4 v[84:87], v[0:1], off offset:3584
	v_lshl_add_u32 v0, v4, 4, 0
	s_movk_i32 s2, 0x9f
	v_cmp_eq_u32_e32 vcc, s2, v4
	s_waitcnt vmcnt(19)
	ds_write_b128 v0, v[6:9]
	s_waitcnt vmcnt(18)
	ds_write_b128 v0, v[10:13] offset:2560
	s_waitcnt vmcnt(17)
	ds_write_b128 v0, v[14:17] offset:20480
	;; [unrolled: 2-line block ×8, first 2 shown]
	ds_write_b128 v0, v[18:21] offset:23040
	s_waitcnt vmcnt(9)
	ds_write_b128 v0, v[46:49] offset:25600
	s_waitcnt vmcnt(8)
	;; [unrolled: 2-line block ×10, first 2 shown]
	ds_write_b128 v0, v[84:87] offset:48640
	v_mov_b32_e32 v0, v4
	v_mov_b32_e32 v1, v5
	s_and_saveexec_b64 s[2:3], vcc
	s_cbranch_execz .LBB0_12
; %bb.11:
	v_add_co_u32_e32 v0, vcc, 0xc000, v3
	v_addc_co_u32_e32 v1, vcc, 0, v2, vcc
	global_load_dwordx4 v[2:5], v[0:1], off offset:2048
	v_mov_b32_e32 v6, 0
	v_mov_b32_e32 v0, 0x9f
	;; [unrolled: 1-line block ×3, first 2 shown]
	s_waitcnt vmcnt(0)
	ds_write_b128 v6, v[2:5] offset:51200
	v_mov_b32_e32 v4, 0x9f
.LBB0_12:
	s_or_b64 exec, exec, s[2:3]
	v_mov_b32_e32 v80, v4
	v_mov_b32_e32 v5, v1
	;; [unrolled: 1-line block ×3, first 2 shown]
.LBB0_13:
	s_or_b64 exec, exec, s[14:15]
	v_lshlrev_b32_e32 v0, 4, v80
	v_add_u32_e32 v126, 0, v0
	s_waitcnt lgkmcnt(0)
	s_barrier
	v_sub_u32_e32 v10, 0, v0
	ds_read_b64 v[6:7], v126
	ds_read_b64 v[8:9], v10 offset:51200
	s_add_u32 s5, s12, 0xc760
	v_lshlrev_b64 v[84:85], 4, v[4:5]
	s_addc_u32 s4, s13, 0
	v_cmp_ne_u32_e32 vcc, 0, v80
	s_waitcnt lgkmcnt(0)
	v_add_f64 v[0:1], v[6:7], v[8:9]
	v_add_f64 v[2:3], v[6:7], -v[8:9]
	s_and_saveexec_b64 s[2:3], vcc
	s_xor_b64 s[2:3], exec, s[2:3]
	s_cbranch_execz .LBB0_15
; %bb.14:
	v_mov_b32_e32 v1, s4
	v_add_co_u32_e32 v0, vcc, s5, v84
	v_addc_co_u32_e32 v1, vcc, v1, v85, vcc
	global_load_dwordx4 v[2:5], v[0:1], off
	ds_read_b64 v[0:1], v10 offset:51208
	ds_read_b64 v[11:12], v126 offset:8
	v_add_f64 v[13:14], v[6:7], v[8:9]
	v_add_f64 v[8:9], v[6:7], -v[8:9]
	s_waitcnt lgkmcnt(0)
	v_add_f64 v[6:7], v[0:1], v[11:12]
	v_add_f64 v[0:1], v[11:12], -v[0:1]
	s_waitcnt vmcnt(0)
	v_fma_f64 v[11:12], v[8:9], v[4:5], v[13:14]
	v_fma_f64 v[13:14], -v[8:9], v[4:5], v[13:14]
	v_fma_f64 v[15:16], v[6:7], v[4:5], -v[0:1]
	v_fma_f64 v[17:18], v[6:7], v[4:5], v[0:1]
	v_fma_f64 v[0:1], -v[6:7], v[2:3], v[11:12]
	v_fma_f64 v[4:5], v[6:7], v[2:3], v[13:14]
	v_fma_f64 v[6:7], v[8:9], v[2:3], v[15:16]
	v_fma_f64 v[2:3], v[8:9], v[2:3], v[17:18]
	ds_write_b128 v10, v[4:7] offset:51200
.LBB0_15:
	s_andn2_saveexec_b64 s[2:3], s[2:3]
	s_cbranch_execz .LBB0_17
; %bb.16:
	v_mov_b32_e32 v8, 0
	ds_read_b128 v[4:7], v8 offset:25600
	s_waitcnt lgkmcnt(0)
	v_add_f64 v[4:5], v[4:5], v[4:5]
	v_mul_f64 v[6:7], v[6:7], -2.0
	ds_write_b128 v8, v[4:7] offset:25600
.LBB0_17:
	s_or_b64 exec, exec, s[2:3]
	ds_write_b128 v126, v[0:3]
	ds_read_b128 v[0:3], v126 offset:2560
	ds_read_b128 v[4:7], v10 offset:48640
	v_mov_b32_e32 v81, 0
	v_lshlrev_b64 v[86:87], 4, v[80:81]
	s_movk_i32 s22, 0x1000
	s_movk_i32 s2, 0x2000
	s_waitcnt lgkmcnt(0)
	v_add_f64 v[11:12], v[0:1], v[4:5]
	v_add_f64 v[15:16], v[0:1], -v[4:5]
	v_add_co_u32_e32 v0, vcc, s5, v86
	v_mov_b32_e32 v1, s4
	v_addc_co_u32_e32 v1, vcc, v1, v87, vcc
	v_add_f64 v[13:14], v[6:7], v[2:3]
	v_add_f64 v[17:18], v[2:3], -v[6:7]
	global_load_dwordx4 v[2:5], v[0:1], off offset:2560
	v_add_co_u32_e32 v19, vcc, s22, v0
	v_addc_co_u32_e32 v20, vcc, 0, v1, vcc
	s_movk_i32 s23, 0x3000
	s_mov_b32 s8, 0x134454ff
	s_mov_b32 s9, 0xbfee6f0e
	;; [unrolled: 1-line block ×13, first 2 shown]
	s_movk_i32 s24, 0x90
	v_add_u32_e32 v128, 0xa0, v80
	v_add_u32_e32 v127, 0x140, v80
	s_waitcnt vmcnt(0)
	v_fma_f64 v[6:7], v[15:16], v[4:5], v[11:12]
	v_fma_f64 v[8:9], v[13:14], v[4:5], v[17:18]
	v_fma_f64 v[6:7], -v[13:14], v[2:3], v[6:7]
	v_fma_f64 v[8:9], v[15:16], v[2:3], v[8:9]
	ds_write_b128 v126, v[6:9] offset:2560
	v_fma_f64 v[6:7], -v[15:16], v[4:5], v[11:12]
	v_fma_f64 v[4:5], v[13:14], v[4:5], -v[17:18]
	v_fma_f64 v[6:7], v[13:14], v[2:3], v[6:7]
	v_fma_f64 v[8:9], v[15:16], v[2:3], v[4:5]
	ds_write_b128 v10, v[6:9] offset:48640
	ds_read_b128 v[2:5], v126 offset:5120
	ds_read_b128 v[6:9], v10 offset:46080
	s_waitcnt lgkmcnt(0)
	v_add_f64 v[11:12], v[2:3], v[6:7]
	v_add_f64 v[13:14], v[8:9], v[4:5]
	v_add_f64 v[15:16], v[2:3], -v[6:7]
	v_add_f64 v[17:18], v[4:5], -v[8:9]
	global_load_dwordx4 v[2:5], v[19:20], off offset:1024
	s_waitcnt vmcnt(0)
	v_fma_f64 v[6:7], v[15:16], v[4:5], v[11:12]
	v_fma_f64 v[8:9], v[13:14], v[4:5], v[17:18]
	v_fma_f64 v[6:7], -v[13:14], v[2:3], v[6:7]
	v_fma_f64 v[8:9], v[15:16], v[2:3], v[8:9]
	ds_write_b128 v126, v[6:9] offset:5120
	v_fma_f64 v[6:7], -v[15:16], v[4:5], v[11:12]
	v_fma_f64 v[4:5], v[13:14], v[4:5], -v[17:18]
	v_fma_f64 v[6:7], v[13:14], v[2:3], v[6:7]
	v_fma_f64 v[8:9], v[15:16], v[2:3], v[4:5]
	ds_write_b128 v10, v[6:9] offset:46080
	ds_read_b128 v[2:5], v126 offset:7680
	ds_read_b128 v[6:9], v10 offset:43520
	s_waitcnt lgkmcnt(0)
	v_add_f64 v[11:12], v[2:3], v[6:7]
	v_add_f64 v[13:14], v[8:9], v[4:5]
	v_add_f64 v[15:16], v[2:3], -v[6:7]
	v_add_f64 v[17:18], v[4:5], -v[8:9]
	global_load_dwordx4 v[2:5], v[19:20], off offset:3584
	s_waitcnt vmcnt(0)
	v_fma_f64 v[6:7], v[15:16], v[4:5], v[11:12]
	v_fma_f64 v[8:9], v[13:14], v[4:5], v[17:18]
	v_fma_f64 v[6:7], -v[13:14], v[2:3], v[6:7]
	v_fma_f64 v[8:9], v[15:16], v[2:3], v[8:9]
	ds_write_b128 v126, v[6:9] offset:7680
	v_fma_f64 v[6:7], -v[15:16], v[4:5], v[11:12]
	v_fma_f64 v[4:5], v[13:14], v[4:5], -v[17:18]
	v_fma_f64 v[6:7], v[13:14], v[2:3], v[6:7]
	v_fma_f64 v[8:9], v[15:16], v[2:3], v[4:5]
	ds_write_b128 v10, v[6:9] offset:43520
	ds_read_b128 v[2:5], v126 offset:10240
	ds_read_b128 v[6:9], v10 offset:40960
	s_waitcnt lgkmcnt(0)
	v_add_f64 v[11:12], v[2:3], v[6:7]
	v_add_f64 v[15:16], v[2:3], -v[6:7]
	v_add_co_u32_e32 v2, vcc, s2, v0
	v_addc_co_u32_e32 v3, vcc, 0, v1, vcc
	v_add_f64 v[13:14], v[8:9], v[4:5]
	v_add_f64 v[17:18], v[4:5], -v[8:9]
	global_load_dwordx4 v[2:5], v[2:3], off offset:2048
	v_add_co_u32_e32 v19, vcc, s23, v0
	v_addc_co_u32_e32 v20, vcc, 0, v1, vcc
	s_movk_i32 s2, 0x4000
	s_waitcnt vmcnt(0)
	v_fma_f64 v[6:7], v[15:16], v[4:5], v[11:12]
	v_fma_f64 v[8:9], v[13:14], v[4:5], v[17:18]
	v_fma_f64 v[6:7], -v[13:14], v[2:3], v[6:7]
	v_fma_f64 v[8:9], v[15:16], v[2:3], v[8:9]
	ds_write_b128 v126, v[6:9] offset:10240
	v_fma_f64 v[6:7], -v[15:16], v[4:5], v[11:12]
	v_fma_f64 v[4:5], v[13:14], v[4:5], -v[17:18]
	v_fma_f64 v[6:7], v[13:14], v[2:3], v[6:7]
	v_fma_f64 v[8:9], v[15:16], v[2:3], v[4:5]
	ds_write_b128 v10, v[6:9] offset:40960
	ds_read_b128 v[2:5], v126 offset:12800
	ds_read_b128 v[6:9], v10 offset:38400
	s_waitcnt lgkmcnt(0)
	v_add_f64 v[11:12], v[2:3], v[6:7]
	v_add_f64 v[13:14], v[8:9], v[4:5]
	v_add_f64 v[15:16], v[2:3], -v[6:7]
	v_add_f64 v[17:18], v[4:5], -v[8:9]
	global_load_dwordx4 v[2:5], v[19:20], off offset:512
	s_waitcnt vmcnt(0)
	v_fma_f64 v[6:7], v[15:16], v[4:5], v[11:12]
	v_fma_f64 v[8:9], v[13:14], v[4:5], v[17:18]
	v_fma_f64 v[6:7], -v[13:14], v[2:3], v[6:7]
	v_fma_f64 v[8:9], v[15:16], v[2:3], v[8:9]
	ds_write_b128 v126, v[6:9] offset:12800
	v_fma_f64 v[6:7], -v[15:16], v[4:5], v[11:12]
	v_fma_f64 v[4:5], v[13:14], v[4:5], -v[17:18]
	v_fma_f64 v[6:7], v[13:14], v[2:3], v[6:7]
	v_fma_f64 v[8:9], v[15:16], v[2:3], v[4:5]
	ds_write_b128 v10, v[6:9] offset:38400
	ds_read_b128 v[2:5], v126 offset:15360
	ds_read_b128 v[6:9], v10 offset:35840
	s_waitcnt lgkmcnt(0)
	v_add_f64 v[11:12], v[2:3], v[6:7]
	v_add_f64 v[13:14], v[8:9], v[4:5]
	v_add_f64 v[15:16], v[2:3], -v[6:7]
	v_add_f64 v[17:18], v[4:5], -v[8:9]
	global_load_dwordx4 v[2:5], v[19:20], off offset:3072
	s_waitcnt vmcnt(0)
	v_fma_f64 v[6:7], v[15:16], v[4:5], v[11:12]
	v_fma_f64 v[8:9], v[13:14], v[4:5], v[17:18]
	v_fma_f64 v[6:7], -v[13:14], v[2:3], v[6:7]
	v_fma_f64 v[8:9], v[15:16], v[2:3], v[8:9]
	ds_write_b128 v126, v[6:9] offset:15360
	v_fma_f64 v[6:7], -v[15:16], v[4:5], v[11:12]
	v_fma_f64 v[4:5], v[13:14], v[4:5], -v[17:18]
	v_fma_f64 v[6:7], v[13:14], v[2:3], v[6:7]
	v_fma_f64 v[8:9], v[15:16], v[2:3], v[4:5]
	ds_write_b128 v10, v[6:9] offset:35840
	ds_read_b128 v[2:5], v126 offset:17920
	ds_read_b128 v[6:9], v10 offset:33280
	s_waitcnt lgkmcnt(0)
	v_add_f64 v[11:12], v[2:3], v[6:7]
	v_add_f64 v[15:16], v[2:3], -v[6:7]
	v_add_co_u32_e32 v2, vcc, s2, v0
	v_addc_co_u32_e32 v3, vcc, 0, v1, vcc
	v_add_f64 v[13:14], v[8:9], v[4:5]
	v_add_f64 v[17:18], v[4:5], -v[8:9]
	global_load_dwordx4 v[2:5], v[2:3], off offset:1536
	s_movk_i32 s2, 0x5000
	s_waitcnt vmcnt(0)
	v_fma_f64 v[6:7], v[15:16], v[4:5], v[11:12]
	v_fma_f64 v[8:9], v[13:14], v[4:5], v[17:18]
	v_fma_f64 v[6:7], -v[13:14], v[2:3], v[6:7]
	v_fma_f64 v[8:9], v[15:16], v[2:3], v[8:9]
	ds_write_b128 v126, v[6:9] offset:17920
	v_fma_f64 v[6:7], -v[15:16], v[4:5], v[11:12]
	v_fma_f64 v[4:5], v[13:14], v[4:5], -v[17:18]
	v_or_b32_e32 v11, 0x500, v80
	v_mov_b32_e32 v12, v81
	v_lshlrev_b64 v[88:89], 4, v[11:12]
	v_fma_f64 v[6:7], v[13:14], v[2:3], v[6:7]
	v_fma_f64 v[8:9], v[15:16], v[2:3], v[4:5]
	ds_write_b128 v10, v[6:9] offset:33280
	ds_read_b128 v[2:5], v126 offset:20480
	ds_read_b128 v[6:9], v10 offset:30720
	s_waitcnt lgkmcnt(0)
	v_add_f64 v[13:14], v[2:3], v[6:7]
	v_add_f64 v[17:18], v[2:3], -v[6:7]
	v_add_co_u32_e32 v2, vcc, s5, v88
	v_mov_b32_e32 v3, s4
	v_addc_co_u32_e32 v3, vcc, v3, v89, vcc
	v_add_f64 v[15:16], v[8:9], v[4:5]
	v_add_f64 v[19:20], v[4:5], -v[8:9]
	global_load_dwordx4 v[2:5], v[2:3], off
	v_add_co_u32_e32 v0, vcc, s2, v0
	v_addc_co_u32_e32 v1, vcc, 0, v1, vcc
	s_mov_b32 s5, 0x3fee6f0e
	s_mov_b32 s4, s8
	;; [unrolled: 1-line block ×3, first 2 shown]
	s_waitcnt vmcnt(0)
	v_fma_f64 v[6:7], v[17:18], v[4:5], v[13:14]
	v_fma_f64 v[8:9], v[15:16], v[4:5], v[19:20]
	v_fma_f64 v[6:7], -v[15:16], v[2:3], v[6:7]
	v_fma_f64 v[8:9], v[17:18], v[2:3], v[8:9]
	ds_write_b128 v126, v[6:9] offset:20480
	v_fma_f64 v[6:7], -v[17:18], v[4:5], v[13:14]
	v_fma_f64 v[4:5], v[15:16], v[4:5], -v[19:20]
	v_fma_f64 v[6:7], v[15:16], v[2:3], v[6:7]
	v_fma_f64 v[8:9], v[17:18], v[2:3], v[4:5]
	ds_write_b128 v10, v[6:9] offset:30720
	ds_read_b128 v[2:5], v126 offset:23040
	ds_read_b128 v[6:9], v10 offset:28160
	s_waitcnt lgkmcnt(0)
	v_add_f64 v[11:12], v[2:3], v[6:7]
	v_add_f64 v[15:16], v[2:3], -v[6:7]
	global_load_dwordx4 v[0:3], v[0:1], off offset:2560
	v_add_f64 v[13:14], v[8:9], v[4:5]
	v_add_f64 v[8:9], v[4:5], -v[8:9]
	s_waitcnt vmcnt(0)
	v_fma_f64 v[4:5], v[15:16], v[2:3], v[11:12]
	v_fma_f64 v[6:7], v[13:14], v[2:3], v[8:9]
	v_fma_f64 v[4:5], -v[13:14], v[0:1], v[4:5]
	v_fma_f64 v[6:7], v[15:16], v[0:1], v[6:7]
	ds_write_b128 v126, v[4:7] offset:23040
	v_fma_f64 v[4:5], -v[15:16], v[2:3], v[11:12]
	v_fma_f64 v[2:3], v[13:14], v[2:3], -v[8:9]
	v_fma_f64 v[4:5], v[13:14], v[0:1], v[4:5]
	v_fma_f64 v[6:7], v[15:16], v[0:1], v[2:3]
	ds_write_b128 v10, v[4:7] offset:28160
	s_waitcnt lgkmcnt(0)
	s_barrier
	s_barrier
	ds_read_b128 v[44:47], v126
	ds_read_b128 v[36:39], v126 offset:5120
	ds_read_b128 v[56:59], v126 offset:10240
	;; [unrolled: 1-line block ×19, first 2 shown]
	s_waitcnt lgkmcnt(13)
	v_add_f64 v[42:43], v[90:91], v[94:95]
	s_waitcnt lgkmcnt(11)
	v_add_f64 v[52:53], v[58:59], -v[100:101]
	v_add_f64 v[54:55], v[92:93], -v[96:97]
	;; [unrolled: 1-line block ×4, first 2 shown]
	v_add_f64 v[40:41], v[44:45], v[56:57]
	v_add_f64 v[104:105], v[94:95], -v[98:99]
	s_waitcnt lgkmcnt(0)
	v_fma_f64 v[48:49], v[42:43], -0.5, v[44:45]
	s_barrier
	v_add_f64 v[50:51], v[50:51], v[102:103]
	v_add_f64 v[102:103], v[90:91], -v[56:57]
	v_add_f64 v[40:41], v[40:41], v[90:91]
	v_add_f64 v[90:91], v[90:91], -v[94:95]
	v_fma_f64 v[42:43], v[52:53], s[8:9], v[48:49]
	v_fma_f64 v[48:49], v[52:53], s[4:5], v[48:49]
	v_add_f64 v[102:103], v[102:103], v[104:105]
	v_add_f64 v[40:41], v[40:41], v[94:95]
	v_add_f64 v[94:95], v[58:59], -v[92:93]
	v_fma_f64 v[42:43], v[54:55], s[14:15], v[42:43]
	v_fma_f64 v[48:49], v[54:55], s[2:3], v[48:49]
	v_add_f64 v[104:105], v[20:21], -v[24:25]
	v_add_f64 v[40:41], v[40:41], v[98:99]
	v_fma_f64 v[42:43], v[50:51], s[6:7], v[42:43]
	v_fma_f64 v[50:51], v[50:51], s[6:7], v[48:49]
	v_add_f64 v[48:49], v[56:57], v[98:99]
	v_fma_f64 v[44:45], v[48:49], -0.5, v[44:45]
	v_fma_f64 v[48:49], v[54:55], s[4:5], v[44:45]
	v_fma_f64 v[44:45], v[54:55], s[8:9], v[44:45]
	;; [unrolled: 1-line block ×4, first 2 shown]
	v_add_f64 v[52:53], v[56:57], -v[98:99]
	v_add_f64 v[98:99], v[100:101], -v[96:97]
	v_fma_f64 v[48:49], v[102:103], s[6:7], v[48:49]
	v_fma_f64 v[54:55], v[102:103], s[6:7], v[44:45]
	v_add_f64 v[44:45], v[46:47], v[58:59]
	v_add_f64 v[94:95], v[94:95], v[98:99]
	;; [unrolled: 1-line block ×6, first 2 shown]
	v_fma_f64 v[44:45], v[44:45], -0.5, v[46:47]
	v_fma_f64 v[56:57], v[52:53], s[4:5], v[44:45]
	v_fma_f64 v[44:45], v[52:53], s[8:9], v[44:45]
	;; [unrolled: 1-line block ×6, first 2 shown]
	v_add_f64 v[44:45], v[58:59], v[100:101]
	v_add_f64 v[56:57], v[92:93], -v[58:59]
	v_add_f64 v[58:59], v[96:97], -v[100:101]
	;; [unrolled: 1-line block ×4, first 2 shown]
	v_fma_f64 v[44:45], v[44:45], -0.5, v[46:47]
	v_add_f64 v[56:57], v[56:57], v[58:59]
	v_add_f64 v[58:59], v[34:35], -v[22:23]
	v_add_f64 v[96:97], v[96:97], v[100:101]
	v_add_f64 v[100:101], v[32:33], -v[28:29]
	v_fma_f64 v[46:47], v[90:91], s[8:9], v[44:45]
	v_fma_f64 v[44:45], v[90:91], s[4:5], v[44:45]
	v_add_f64 v[100:101], v[100:101], v[104:105]
	v_fma_f64 v[46:47], v[52:53], s[2:3], v[46:47]
	v_fma_f64 v[44:45], v[52:53], s[14:15], v[44:45]
	;; [unrolled: 1-line block ×4, first 2 shown]
	v_add_f64 v[44:45], v[36:37], v[28:29]
	v_add_f64 v[46:47], v[30:31], -v[26:27]
	v_add_f64 v[44:45], v[44:45], v[32:33]
	v_add_f64 v[44:45], v[44:45], v[20:21]
	;; [unrolled: 1-line block ×4, first 2 shown]
	v_add_f64 v[20:21], v[32:33], -v[20:21]
	v_add_f64 v[32:33], v[30:31], -v[34:35]
	v_fma_f64 v[44:45], v[44:45], -0.5, v[36:37]
	v_fma_f64 v[56:57], v[46:47], s[8:9], v[44:45]
	v_fma_f64 v[44:45], v[46:47], s[4:5], v[44:45]
	;; [unrolled: 1-line block ×6, first 2 shown]
	v_add_f64 v[44:45], v[28:29], v[24:25]
	v_add_f64 v[24:25], v[28:29], -v[24:25]
	v_fma_f64 v[36:37], v[44:45], -0.5, v[36:37]
	v_fma_f64 v[44:45], v[58:59], s[4:5], v[36:37]
	v_fma_f64 v[36:37], v[58:59], s[8:9], v[36:37]
	;; [unrolled: 1-line block ×6, first 2 shown]
	v_add_f64 v[36:37], v[38:39], v[30:31]
	v_add_f64 v[44:45], v[26:27], -v[22:23]
	v_add_f64 v[36:37], v[36:37], v[34:35]
	v_add_f64 v[32:33], v[32:33], v[44:45]
	;; [unrolled: 1-line block ×5, first 2 shown]
	v_add_f64 v[22:23], v[22:23], -v[26:27]
	v_fma_f64 v[36:37], v[36:37], -0.5, v[38:39]
	v_fma_f64 v[28:29], v[24:25], s[4:5], v[36:37]
	v_fma_f64 v[28:29], v[20:21], s[2:3], v[28:29]
	;; [unrolled: 1-line block ×6, first 2 shown]
	v_add_f64 v[28:29], v[30:31], v[26:27]
	v_add_f64 v[30:31], v[34:35], -v[30:31]
	v_fma_f64 v[28:29], v[28:29], -0.5, v[38:39]
	v_add_f64 v[22:23], v[30:31], v[22:23]
	v_mul_f64 v[30:31], v[56:57], s[2:3]
	v_fma_f64 v[36:37], v[20:21], s[8:9], v[28:29]
	v_fma_f64 v[20:21], v[20:21], s[4:5], v[28:29]
	;; [unrolled: 1-line block ×6, first 2 shown]
	v_mul_f64 v[22:23], v[100:101], s[14:15]
	v_fma_f64 v[100:101], v[100:101], s[16:17], v[30:31]
	v_add_f64 v[20:21], v[40:41], v[52:53]
	v_fma_f64 v[106:107], v[56:57], s[16:17], v[22:23]
	v_mul_f64 v[22:23], v[26:27], s[8:9]
	v_mul_f64 v[26:27], v[26:27], s[6:7]
	v_add_f64 v[30:31], v[98:99], v[100:101]
	v_add_f64 v[56:57], v[40:41], -v[52:53]
	v_add_f64 v[28:29], v[42:43], v[106:107]
	v_fma_f64 v[108:109], v[104:105], s[6:7], v[22:23]
	v_mul_f64 v[22:23], v[34:35], s[8:9]
	v_fma_f64 v[104:105], v[104:105], s[4:5], v[26:27]
	v_mul_f64 v[34:35], v[34:35], s[18:19]
	v_add_f64 v[52:53], v[42:43], -v[106:107]
	v_add_f64 v[24:25], v[48:49], v[108:109]
	v_fma_f64 v[110:111], v[46:47], s[18:19], v[22:23]
	v_mul_f64 v[22:23], v[32:33], s[14:15]
	v_mul_f64 v[32:33], v[32:33], s[20:21]
	v_add_f64 v[26:27], v[92:93], v[104:105]
	v_fma_f64 v[34:35], v[46:47], s[4:5], v[34:35]
	v_add_f64 v[48:49], v[48:49], -v[108:109]
	v_add_f64 v[36:37], v[54:55], v[110:111]
	v_fma_f64 v[112:113], v[96:97], s[20:21], v[22:23]
	v_fma_f64 v[96:97], v[96:97], s[2:3], v[32:33]
	v_add_f64 v[40:41], v[54:55], -v[110:111]
	v_add_f64 v[38:39], v[90:91], v[34:35]
	v_add_f64 v[54:55], v[98:99], -v[100:101]
	v_add_f64 v[42:43], v[90:91], -v[34:35]
	;; [unrolled: 1-line block ×3, first 2 shown]
	v_add_f64 v[22:23], v[102:103], v[58:59]
	v_add_f64 v[44:45], v[50:51], v[112:113]
	v_add_f64 v[32:33], v[50:51], -v[112:113]
	v_add_f64 v[50:51], v[92:93], -v[104:105]
	v_add_f64 v[92:93], v[68:69], v[72:73]
	v_add_f64 v[46:47], v[94:95], v[96:97]
	v_add_f64 v[34:35], v[94:95], -v[96:97]
	v_add_f64 v[58:59], v[102:103], -v[58:59]
	;; [unrolled: 1-line block ×5, first 2 shown]
	v_add_f64 v[90:91], v[60:61], v[64:65]
	v_fma_f64 v[94:95], v[92:93], -0.5, v[60:61]
	v_add_f64 v[104:105], v[72:73], -v[76:77]
	v_add_f64 v[96:97], v[96:97], v[102:103]
	v_add_f64 v[90:91], v[90:91], v[68:69]
	v_fma_f64 v[92:93], v[98:99], s[8:9], v[94:95]
	v_fma_f64 v[94:95], v[98:99], s[4:5], v[94:95]
	v_add_f64 v[102:103], v[68:69], -v[64:65]
	v_add_f64 v[90:91], v[90:91], v[72:73]
	v_fma_f64 v[92:93], v[100:101], s[14:15], v[92:93]
	v_fma_f64 v[94:95], v[100:101], s[2:3], v[94:95]
	v_add_f64 v[102:103], v[102:103], v[104:105]
	v_add_f64 v[72:73], v[68:69], -v[72:73]
	v_add_f64 v[68:69], v[66:67], -v[70:71]
	;; [unrolled: 1-line block ×3, first 2 shown]
	v_add_f64 v[90:91], v[90:91], v[76:77]
	v_fma_f64 v[92:93], v[96:97], s[6:7], v[92:93]
	v_fma_f64 v[94:95], v[96:97], s[6:7], v[94:95]
	v_add_f64 v[96:97], v[64:65], v[76:77]
	v_add_f64 v[76:77], v[64:65], -v[76:77]
	v_fma_f64 v[60:61], v[96:97], -0.5, v[60:61]
	v_fma_f64 v[96:97], v[100:101], s[4:5], v[60:61]
	v_fma_f64 v[60:61], v[100:101], s[8:9], v[60:61]
	v_add_f64 v[100:101], v[70:71], v[74:75]
	v_fma_f64 v[96:97], v[98:99], s[14:15], v[96:97]
	v_fma_f64 v[60:61], v[98:99], s[2:3], v[60:61]
	v_fma_f64 v[100:101], v[100:101], -0.5, v[62:63]
	v_fma_f64 v[96:97], v[102:103], s[6:7], v[96:97]
	v_fma_f64 v[98:99], v[102:103], s[6:7], v[60:61]
	;; [unrolled: 1-line block ×3, first 2 shown]
	v_add_f64 v[102:103], v[78:79], -v[74:75]
	v_add_f64 v[60:61], v[62:63], v[66:67]
	v_fma_f64 v[64:65], v[72:73], s[2:3], v[64:65]
	v_add_f64 v[102:103], v[68:69], v[102:103]
	v_add_f64 v[60:61], v[60:61], v[70:71]
	v_fma_f64 v[68:69], v[102:103], s[6:7], v[64:65]
	v_fma_f64 v[64:65], v[76:77], s[8:9], v[100:101]
	v_add_f64 v[100:101], v[66:67], v[78:79]
	v_add_f64 v[66:67], v[70:71], -v[66:67]
	v_add_f64 v[70:71], v[74:75], -v[78:79]
	v_add_f64 v[60:61], v[60:61], v[74:75]
	v_add_f64 v[74:75], v[10:11], -v[6:7]
	v_fma_f64 v[64:65], v[72:73], s[14:15], v[64:65]
	v_fma_f64 v[62:63], v[100:101], -0.5, v[62:63]
	v_add_f64 v[70:71], v[66:67], v[70:71]
	v_add_f64 v[60:61], v[60:61], v[78:79]
	v_add_f64 v[78:79], v[14:15], -v[2:3]
	v_fma_f64 v[64:65], v[102:103], s[6:7], v[64:65]
	v_fma_f64 v[100:101], v[72:73], s[8:9], v[62:63]
	;; [unrolled: 1-line block ×3, first 2 shown]
	v_add_f64 v[72:73], v[12:13], v[0:1]
	v_add_f64 v[102:103], v[4:5], -v[0:1]
	v_fma_f64 v[100:101], v[76:77], s[2:3], v[100:101]
	v_fma_f64 v[62:63], v[76:77], s[14:15], v[62:63]
	v_fma_f64 v[72:73], v[72:73], -0.5, v[16:17]
	v_fma_f64 v[66:67], v[70:71], s[6:7], v[100:101]
	v_add_f64 v[100:101], v[8:9], -v[12:13]
	v_fma_f64 v[76:77], v[74:75], s[8:9], v[72:73]
	v_fma_f64 v[72:73], v[74:75], s[4:5], v[72:73]
	v_fma_f64 v[62:63], v[70:71], s[6:7], v[62:63]
	v_add_f64 v[70:71], v[16:17], v[8:9]
	v_add_f64 v[100:101], v[100:101], v[102:103]
	v_fma_f64 v[76:77], v[78:79], s[14:15], v[76:77]
	v_fma_f64 v[72:73], v[78:79], s[2:3], v[72:73]
	v_add_f64 v[102:103], v[12:13], -v[8:9]
	v_add_f64 v[70:71], v[70:71], v[12:13]
	v_fma_f64 v[76:77], v[100:101], s[6:7], v[76:77]
	v_fma_f64 v[72:73], v[100:101], s[6:7], v[72:73]
	v_add_f64 v[100:101], v[8:9], v[4:5]
	v_add_f64 v[102:103], v[102:103], v[104:105]
	;; [unrolled: 1-line block ×3, first 2 shown]
	v_add_f64 v[0:1], v[12:13], -v[0:1]
	v_add_f64 v[12:13], v[10:11], -v[14:15]
	v_fma_f64 v[16:17], v[100:101], -0.5, v[16:17]
	v_add_f64 v[70:71], v[70:71], v[4:5]
	v_add_f64 v[4:5], v[8:9], -v[4:5]
	v_fma_f64 v[100:101], v[78:79], s[4:5], v[16:17]
	v_fma_f64 v[16:17], v[78:79], s[8:9], v[16:17]
	;; [unrolled: 1-line block ×6, first 2 shown]
	v_add_f64 v[16:17], v[18:19], v[10:11]
	v_add_f64 v[102:103], v[6:7], -v[2:3]
	v_add_f64 v[16:17], v[16:17], v[14:15]
	v_add_f64 v[12:13], v[12:13], v[102:103]
	;; [unrolled: 1-line block ×5, first 2 shown]
	v_add_f64 v[2:3], v[2:3], -v[6:7]
	v_fma_f64 v[16:17], v[16:17], -0.5, v[18:19]
	v_fma_f64 v[8:9], v[4:5], s[4:5], v[16:17]
	v_fma_f64 v[8:9], v[0:1], s[2:3], v[8:9]
	;; [unrolled: 1-line block ×6, first 2 shown]
	v_add_f64 v[8:9], v[10:11], v[6:7]
	v_add_f64 v[10:11], v[14:15], -v[10:11]
	v_mul_f64 v[6:7], v[76:77], s[2:3]
	v_fma_f64 v[8:9], v[8:9], -0.5, v[18:19]
	v_add_f64 v[2:3], v[10:11], v[2:3]
	v_mul_f64 v[18:19], v[104:105], s[20:21]
	v_fma_f64 v[12:13], v[0:1], s[8:9], v[8:9]
	v_fma_f64 v[0:1], v[0:1], s[4:5], v[8:9]
	v_fma_f64 v[12:13], v[4:5], s[2:3], v[12:13]
	v_fma_f64 v[0:1], v[4:5], s[14:15], v[0:1]
	v_fma_f64 v[10:11], v[2:3], s[6:7], v[12:13]
	v_fma_f64 v[14:15], v[2:3], s[6:7], v[0:1]
	v_mul_f64 v[2:3], v[102:103], s[14:15]
	v_add_f64 v[0:1], v[90:91], v[70:71]
	v_add_f64 v[70:71], v[90:91], -v[70:71]
	v_fma_f64 v[106:107], v[76:77], s[16:17], v[2:3]
	v_mul_f64 v[2:3], v[10:11], s[8:9]
	v_mul_f64 v[10:11], v[10:11], s[6:7]
	v_fma_f64 v[76:77], v[102:103], s[16:17], v[6:7]
	v_add_f64 v[4:5], v[92:93], v[106:107]
	v_fma_f64 v[108:109], v[100:101], s[6:7], v[2:3]
	v_mul_f64 v[2:3], v[14:15], s[8:9]
	v_mul_f64 v[14:15], v[14:15], s[18:19]
	v_fma_f64 v[102:103], v[100:101], s[4:5], v[10:11]
	v_add_f64 v[6:7], v[68:69], v[76:77]
	v_add_f64 v[76:77], v[68:69], -v[76:77]
	v_add_f64 v[90:91], v[96:97], -v[108:109]
	v_fma_f64 v[110:111], v[74:75], s[18:19], v[2:3]
	v_mul_f64 v[2:3], v[104:105], s[14:15]
	v_fma_f64 v[114:115], v[74:75], s[4:5], v[14:15]
	v_fma_f64 v[104:105], v[72:73], s[2:3], v[18:19]
	v_add_f64 v[8:9], v[96:97], v[108:109]
	v_add_f64 v[10:11], v[66:67], v[102:103]
	v_add_f64 v[74:75], v[92:93], -v[106:107]
	v_add_f64 v[92:93], v[66:67], -v[102:103]
	v_add_f64 v[12:13], v[98:99], v[110:111]
	v_fma_f64 v[112:113], v[72:73], s[20:21], v[2:3]
	v_add_f64 v[2:3], v[60:61], v[78:79]
	v_add_f64 v[72:73], v[60:61], -v[78:79]
	v_mad_u32_u24 v60, v80, s24, v126
	s_movk_i32 s24, 0xcd
	v_add_f64 v[14:15], v[62:63], v[114:115]
	v_add_f64 v[18:19], v[64:65], v[104:105]
	v_add_f64 v[96:97], v[98:99], -v[110:111]
	v_add_f64 v[16:17], v[94:95], v[112:113]
	v_add_f64 v[100:101], v[94:95], -v[112:113]
	v_add_f64 v[98:99], v[62:63], -v[114:115]
	;; [unrolled: 1-line block ×3, first 2 shown]
	ds_write_b128 v60, v[20:23]
	ds_write_b128 v60, v[28:31] offset:16
	ds_write_b128 v60, v[24:27] offset:32
	;; [unrolled: 1-line block ×19, first 2 shown]
	v_mul_lo_u16_sdwa v90, v80, s24 dst_sel:DWORD dst_unused:UNUSED_PAD src0_sel:BYTE_0 src1_sel:DWORD
	v_lshrrev_b16_e32 v132, 11, v90
	v_mul_lo_u16_e32 v90, 10, v132
	v_sub_u16_e32 v129, v80, v90
	v_mov_b32_e32 v90, 9
	v_mul_u32_u24_sdwa v90, v129, v90 dst_sel:DWORD dst_unused:UNUSED_PAD src0_sel:BYTE_0 src1_sel:DWORD
	v_lshlrev_b32_e32 v112, 4, v90
	s_waitcnt lgkmcnt(0)
	s_barrier
	ds_read_b128 v[4:7], v126
	ds_read_b128 v[44:47], v126 offset:5120
	ds_read_b128 v[48:51], v126 offset:10240
	ds_read_b128 v[52:55], v126 offset:15360
	ds_read_b128 v[56:59], v126 offset:20480
	ds_read_b128 v[60:63], v126 offset:25600
	ds_read_b128 v[64:67], v126 offset:30720
	ds_read_b128 v[68:71], v126 offset:35840
	ds_read_b128 v[72:75], v126 offset:40960
	ds_read_b128 v[76:79], v126 offset:46080
	ds_read_b128 v[0:3], v126 offset:2560
	ds_read_b128 v[40:43], v126 offset:7680
	ds_read_b128 v[36:39], v126 offset:12800
	ds_read_b128 v[32:35], v126 offset:17920
	ds_read_b128 v[28:31], v126 offset:23040
	ds_read_b128 v[24:27], v126 offset:28160
	ds_read_b128 v[20:23], v126 offset:33280
	ds_read_b128 v[16:19], v126 offset:38400
	ds_read_b128 v[12:15], v126 offset:43520
	ds_read_b128 v[8:11], v126 offset:48640
	global_load_dwordx4 v[96:99], v112, s[12:13] offset:48
	global_load_dwordx4 v[102:105], v112, s[12:13] offset:32
	;; [unrolled: 1-line block ×3, first 2 shown]
	global_load_dwordx4 v[90:93], v112, s[12:13]
	s_mov_b32 s24, 0xcccd
	s_waitcnt vmcnt(0) lgkmcnt(14)
	v_mul_f64 v[94:95], v[46:47], v[92:93]
	v_fma_f64 v[100:101], v[44:45], v[90:91], v[94:95]
	v_mul_f64 v[44:45], v[44:45], v[92:93]
	v_fma_f64 v[92:93], v[46:47], v[90:91], -v[44:45]
	v_mul_f64 v[44:45], v[50:51], v[108:109]
	v_fma_f64 v[114:115], v[48:49], v[106:107], v[44:45]
	v_mul_f64 v[44:45], v[48:49], v[108:109]
	v_fma_f64 v[108:109], v[50:51], v[106:107], -v[44:45]
	;; [unrolled: 4-line block ×4, first 2 shown]
	global_load_dwordx4 v[44:47], v112, s[12:13] offset:112
	global_load_dwordx4 v[48:51], v112, s[12:13] offset:96
	;; [unrolled: 1-line block ×4, first 2 shown]
	s_waitcnt vmcnt(0)
	v_mul_f64 v[96:97], v[62:63], v[58:59]
	v_mul_f64 v[58:59], v[60:61], v[58:59]
	v_fma_f64 v[102:103], v[60:61], v[56:57], v[96:97]
	v_fma_f64 v[96:97], v[62:63], v[56:57], -v[58:59]
	s_waitcnt lgkmcnt(13)
	v_mul_f64 v[56:57], v[66:67], v[54:55]
	v_mul_f64 v[54:55], v[64:65], v[54:55]
	v_fma_f64 v[122:123], v[64:65], v[52:53], v[56:57]
	v_fma_f64 v[118:119], v[66:67], v[52:53], -v[54:55]
	s_waitcnt lgkmcnt(12)
	;; [unrolled: 5-line block ×3, first 2 shown]
	v_mul_f64 v[48:49], v[74:75], v[46:47]
	v_mul_f64 v[46:47], v[72:73], v[46:47]
	v_fma_f64 v[124:125], v[72:73], v[44:45], v[48:49]
	v_fma_f64 v[120:121], v[74:75], v[44:45], -v[46:47]
	global_load_dwordx4 v[44:47], v112, s[12:13] offset:128
	s_waitcnt vmcnt(0) lgkmcnt(10)
	v_mul_f64 v[48:49], v[78:79], v[46:47]
	v_mul_f64 v[46:47], v[76:77], v[46:47]
	v_fma_f64 v[112:113], v[76:77], v[44:45], v[48:49]
	v_fma_f64 v[106:107], v[78:79], v[44:45], -v[46:47]
	v_mul_u32_u24_sdwa v44, v128, s24 dst_sel:DWORD dst_unused:UNUSED_PAD src0_sel:WORD_0 src1_sel:DWORD
	v_lshrrev_b32_e32 v130, 19, v44
	v_mul_lo_u16_e32 v44, 10, v130
	v_sub_u16_e32 v131, v128, v44
	v_mul_u32_u24_e32 v44, 9, v131
	v_lshlrev_b32_e32 v68, 4, v44
	global_load_dwordx4 v[52:55], v68, s[12:13] offset:48
	global_load_dwordx4 v[58:61], v68, s[12:13] offset:32
	;; [unrolled: 1-line block ×3, first 2 shown]
	global_load_dwordx4 v[44:47], v68, s[12:13]
	s_waitcnt vmcnt(0) lgkmcnt(8)
	v_mul_f64 v[48:49], v[42:43], v[46:47]
	v_fma_f64 v[50:51], v[40:41], v[44:45], v[48:49]
	v_mul_f64 v[40:41], v[40:41], v[46:47]
	v_fma_f64 v[46:47], v[42:43], v[44:45], -v[40:41]
	s_waitcnt lgkmcnt(7)
	v_mul_f64 v[40:41], v[38:39], v[64:65]
	v_fma_f64 v[66:67], v[36:37], v[62:63], v[40:41]
	v_mul_f64 v[36:37], v[36:37], v[64:65]
	v_fma_f64 v[56:57], v[38:39], v[62:63], -v[36:37]
	s_waitcnt lgkmcnt(6)
	;; [unrolled: 5-line block ×3, first 2 shown]
	v_mul_f64 v[32:33], v[30:31], v[54:55]
	v_fma_f64 v[64:65], v[28:29], v[52:53], v[32:33]
	v_mul_f64 v[28:29], v[28:29], v[54:55]
	v_fma_f64 v[58:59], v[30:31], v[52:53], -v[28:29]
	global_load_dwordx4 v[28:31], v68, s[12:13] offset:112
	global_load_dwordx4 v[32:35], v68, s[12:13] offset:96
	;; [unrolled: 1-line block ×4, first 2 shown]
	s_waitcnt vmcnt(0) lgkmcnt(4)
	v_mul_f64 v[52:53], v[26:27], v[42:43]
	v_fma_f64 v[60:61], v[24:25], v[40:41], v[52:53]
	v_mul_f64 v[24:25], v[24:25], v[42:43]
	v_fma_f64 v[52:53], v[26:27], v[40:41], -v[24:25]
	s_waitcnt lgkmcnt(3)
	v_mul_f64 v[24:25], v[22:23], v[38:39]
	v_fma_f64 v[76:77], v[20:21], v[36:37], v[24:25]
	v_mul_f64 v[20:21], v[20:21], v[38:39]
	v_fma_f64 v[72:73], v[22:23], v[36:37], -v[20:21]
	s_waitcnt lgkmcnt(2)
	;; [unrolled: 5-line block ×3, first 2 shown]
	v_mul_f64 v[16:17], v[14:15], v[30:31]
	v_add_f64 v[18:19], v[124:125], -v[122:123]
	v_fma_f64 v[78:79], v[12:13], v[28:29], v[16:17]
	v_mul_f64 v[12:13], v[12:13], v[30:31]
	v_fma_f64 v[74:75], v[14:15], v[28:29], -v[12:13]
	global_load_dwordx4 v[12:15], v68, s[12:13] offset:128
	s_waitcnt vmcnt(0) lgkmcnt(0)
	s_barrier
	v_mul_f64 v[16:17], v[10:11], v[14:15]
	v_fma_f64 v[70:71], v[8:9], v[12:13], v[16:17]
	v_mul_f64 v[8:9], v[8:9], v[14:15]
	v_add_f64 v[14:15], v[110:111], -v[118:119]
	v_add_f64 v[16:17], v[114:115], -v[116:117]
	v_fma_f64 v[68:69], v[10:11], v[12:13], -v[8:9]
	v_add_f64 v[8:9], v[4:5], v[114:115]
	v_add_f64 v[10:11], v[108:109], -v[120:121]
	v_add_f64 v[16:17], v[16:17], v[18:19]
	v_add_f64 v[8:9], v[8:9], v[116:117]
	;; [unrolled: 1-line block ×5, first 2 shown]
	v_fma_f64 v[8:9], v[8:9], -0.5, v[4:5]
	v_fma_f64 v[12:13], v[10:11], s[8:9], v[8:9]
	v_fma_f64 v[8:9], v[10:11], s[4:5], v[8:9]
	;; [unrolled: 1-line block ×6, first 2 shown]
	v_add_f64 v[8:9], v[114:115], v[124:125]
	v_add_f64 v[12:13], v[116:117], -v[114:115]
	v_add_f64 v[16:17], v[122:123], -v[124:125]
	v_fma_f64 v[4:5], v[8:9], -0.5, v[4:5]
	v_add_f64 v[12:13], v[12:13], v[16:17]
	v_add_f64 v[16:17], v[120:121], -v[118:119]
	v_fma_f64 v[8:9], v[14:15], s[4:5], v[4:5]
	v_fma_f64 v[4:5], v[14:15], s[8:9], v[4:5]
	v_add_f64 v[14:15], v[108:109], -v[110:111]
	v_fma_f64 v[8:9], v[10:11], s[14:15], v[8:9]
	v_fma_f64 v[4:5], v[10:11], s[2:3], v[4:5]
	v_add_f64 v[14:15], v[14:15], v[16:17]
	v_add_f64 v[16:17], v[104:105], -v[112:113]
	v_fma_f64 v[28:29], v[12:13], s[6:7], v[8:9]
	v_fma_f64 v[34:35], v[12:13], s[6:7], v[4:5]
	v_add_f64 v[4:5], v[6:7], v[108:109]
	v_add_f64 v[8:9], v[114:115], -v[124:125]
	v_add_f64 v[12:13], v[116:117], -v[122:123]
	v_add_f64 v[4:5], v[4:5], v[110:111]
	v_add_f64 v[4:5], v[4:5], v[118:119]
	;; [unrolled: 1-line block ×4, first 2 shown]
	v_fma_f64 v[4:5], v[4:5], -0.5, v[6:7]
	v_fma_f64 v[10:11], v[8:9], s[4:5], v[4:5]
	v_fma_f64 v[4:5], v[8:9], s[8:9], v[4:5]
	;; [unrolled: 1-line block ×6, first 2 shown]
	v_add_f64 v[4:5], v[108:109], v[120:121]
	v_add_f64 v[10:11], v[110:111], -v[108:109]
	v_add_f64 v[14:15], v[118:119], -v[120:121]
	v_fma_f64 v[4:5], v[4:5], -0.5, v[6:7]
	v_add_f64 v[10:11], v[10:11], v[14:15]
	v_add_f64 v[14:15], v[112:113], -v[104:105]
	v_fma_f64 v[6:7], v[12:13], s[8:9], v[4:5]
	v_fma_f64 v[4:5], v[12:13], s[4:5], v[4:5]
	v_add_f64 v[12:13], v[94:95], -v[102:103]
	v_fma_f64 v[6:7], v[8:9], s[2:3], v[6:7]
	v_fma_f64 v[4:5], v[8:9], s[14:15], v[4:5]
	v_add_f64 v[12:13], v[12:13], v[14:15]
	v_fma_f64 v[108:109], v[10:11], s[6:7], v[6:7]
	v_fma_f64 v[110:111], v[10:11], s[6:7], v[4:5]
	v_add_f64 v[4:5], v[100:101], v[94:95]
	v_add_f64 v[6:7], v[90:91], -v[106:107]
	v_add_f64 v[10:11], v[96:97], -v[98:99]
	v_add_f64 v[4:5], v[4:5], v[102:103]
	v_add_f64 v[4:5], v[4:5], v[104:105]
	;; [unrolled: 1-line block ×4, first 2 shown]
	v_fma_f64 v[4:5], v[4:5], -0.5, v[100:101]
	v_fma_f64 v[8:9], v[6:7], s[8:9], v[4:5]
	v_fma_f64 v[4:5], v[6:7], s[4:5], v[4:5]
	;; [unrolled: 1-line block ×6, first 2 shown]
	v_add_f64 v[4:5], v[94:95], v[112:113]
	v_add_f64 v[12:13], v[102:103], -v[94:95]
	v_fma_f64 v[4:5], v[4:5], -0.5, v[100:101]
	v_add_f64 v[12:13], v[12:13], v[16:17]
	v_add_f64 v[16:17], v[106:107], -v[98:99]
	v_fma_f64 v[8:9], v[10:11], s[4:5], v[4:5]
	v_fma_f64 v[4:5], v[10:11], s[8:9], v[4:5]
	v_add_f64 v[10:11], v[102:103], -v[104:105]
	v_fma_f64 v[8:9], v[6:7], s[14:15], v[8:9]
	v_fma_f64 v[4:5], v[6:7], s[2:3], v[4:5]
	;; [unrolled: 3-line block ×3, first 2 shown]
	v_add_f64 v[4:5], v[92:93], v[90:91]
	v_add_f64 v[12:13], v[90:91], -v[96:97]
	v_add_f64 v[4:5], v[4:5], v[96:97]
	v_add_f64 v[12:13], v[12:13], v[16:17]
	v_add_f64 v[16:17], v[98:99], -v[106:107]
	v_add_f64 v[4:5], v[4:5], v[98:99]
	v_add_f64 v[42:43], v[4:5], v[106:107]
	;; [unrolled: 1-line block ×3, first 2 shown]
	v_fma_f64 v[4:5], v[4:5], -0.5, v[92:93]
	v_fma_f64 v[8:9], v[6:7], s[4:5], v[4:5]
	v_fma_f64 v[4:5], v[6:7], s[8:9], v[4:5]
	v_fma_f64 v[8:9], v[10:11], s[2:3], v[8:9]
	v_fma_f64 v[4:5], v[10:11], s[14:15], v[4:5]
	v_fma_f64 v[40:41], v[12:13], s[6:7], v[8:9]
	v_fma_f64 v[94:95], v[12:13], s[6:7], v[4:5]
	v_add_f64 v[4:5], v[90:91], v[106:107]
	v_add_f64 v[12:13], v[96:97], -v[90:91]
	v_fma_f64 v[4:5], v[4:5], -0.5, v[92:93]
	v_add_f64 v[12:13], v[12:13], v[16:17]
	v_fma_f64 v[8:9], v[10:11], s[8:9], v[4:5]
	v_fma_f64 v[4:5], v[10:11], s[4:5], v[4:5]
	v_mul_f64 v[10:11], v[40:41], s[16:17]
	v_fma_f64 v[8:9], v[6:7], s[2:3], v[8:9]
	v_fma_f64 v[4:5], v[6:7], s[14:15], v[4:5]
	v_mul_f64 v[6:7], v[40:41], s[14:15]
	v_fma_f64 v[104:105], v[14:15], s[2:3], v[10:11]
	v_add_f64 v[40:41], v[24:25], -v[32:33]
	v_fma_f64 v[90:91], v[12:13], s[6:7], v[8:9]
	v_fma_f64 v[92:93], v[12:13], s[6:7], v[4:5]
	;; [unrolled: 1-line block ×3, first 2 shown]
	v_add_f64 v[4:5], v[24:25], v[32:33]
	v_add_f64 v[10:11], v[114:115], v[104:105]
	v_mul_f64 v[6:7], v[90:91], s[8:9]
	v_mul_f64 v[14:15], v[90:91], s[6:7]
	v_add_f64 v[8:9], v[26:27], v[96:97]
	v_fma_f64 v[98:99], v[22:23], s[6:7], v[6:7]
	v_mul_f64 v[6:7], v[92:93], s[8:9]
	v_fma_f64 v[90:91], v[22:23], s[4:5], v[14:15]
	v_mul_f64 v[22:23], v[92:93], s[18:19]
	v_add_f64 v[12:13], v[28:29], v[98:99]
	v_fma_f64 v[100:101], v[36:37], s[18:19], v[6:7]
	v_mul_f64 v[6:7], v[94:95], s[14:15]
	v_fma_f64 v[92:93], v[36:37], s[4:5], v[22:23]
	v_mul_f64 v[36:37], v[94:95], s[20:21]
	v_add_f64 v[32:33], v[28:29], -v[98:99]
	v_add_f64 v[98:99], v[58:59], -v[72:73]
	v_add_f64 v[14:15], v[108:109], v[90:91]
	v_add_f64 v[20:21], v[34:35], v[100:101]
	v_fma_f64 v[102:103], v[18:19], s[20:21], v[6:7]
	v_add_f64 v[22:23], v[110:111], v[92:93]
	v_fma_f64 v[94:95], v[18:19], s[2:3], v[36:37]
	v_add_f64 v[36:37], v[26:27], -v[96:97]
	v_add_f64 v[28:29], v[34:35], -v[100:101]
	;; [unrolled: 1-line block ×4, first 2 shown]
	v_add_f64 v[90:91], v[0:1], v[66:67]
	v_add_f64 v[16:17], v[30:31], v[102:103]
	v_add_f64 v[24:25], v[30:31], -v[102:103]
	v_add_f64 v[30:31], v[110:111], -v[92:93]
	v_add_f64 v[92:93], v[64:65], v[76:77]
	v_add_f64 v[18:19], v[116:117], v[94:95]
	v_add_f64 v[26:27], v[116:117], -v[94:95]
	v_add_f64 v[94:95], v[56:57], -v[74:75]
	;; [unrolled: 1-line block ×3, first 2 shown]
	v_add_f64 v[6:7], v[38:39], v[42:43]
	v_add_f64 v[42:43], v[38:39], -v[42:43]
	v_add_f64 v[38:39], v[114:115], -v[104:105]
	v_fma_f64 v[92:93], v[92:93], -0.5, v[0:1]
	v_add_f64 v[104:105], v[76:77], -v[78:79]
	v_add_f64 v[90:91], v[90:91], v[64:65]
	v_add_f64 v[100:101], v[100:101], v[102:103]
	v_add_f64 v[102:103], v[64:65], -v[66:67]
	v_add_f64 v[64:65], v[64:65], -v[76:77]
	v_fma_f64 v[96:97], v[94:95], s[8:9], v[92:93]
	v_fma_f64 v[92:93], v[94:95], s[4:5], v[92:93]
	v_add_f64 v[90:91], v[90:91], v[76:77]
	v_add_f64 v[102:103], v[102:103], v[104:105]
	v_fma_f64 v[96:97], v[98:99], s[14:15], v[96:97]
	v_fma_f64 v[92:93], v[98:99], s[2:3], v[92:93]
	v_add_f64 v[90:91], v[90:91], v[78:79]
	v_fma_f64 v[96:97], v[100:101], s[6:7], v[96:97]
	v_fma_f64 v[92:93], v[100:101], s[6:7], v[92:93]
	v_add_f64 v[100:101], v[66:67], v[78:79]
	v_add_f64 v[66:67], v[66:67], -v[78:79]
	v_fma_f64 v[0:1], v[100:101], -0.5, v[0:1]
	v_fma_f64 v[100:101], v[98:99], s[4:5], v[0:1]
	v_fma_f64 v[0:1], v[98:99], s[8:9], v[0:1]
	v_fma_f64 v[100:101], v[94:95], s[14:15], v[100:101]
	v_fma_f64 v[0:1], v[94:95], s[2:3], v[0:1]
	v_fma_f64 v[100:101], v[102:103], s[6:7], v[100:101]
	v_fma_f64 v[94:95], v[102:103], s[6:7], v[0:1]
	v_add_f64 v[0:1], v[2:3], v[56:57]
	v_add_f64 v[102:103], v[74:75], -v[72:73]
	v_add_f64 v[0:1], v[0:1], v[58:59]
	v_add_f64 v[0:1], v[0:1], v[72:73]
	;; [unrolled: 1-line block ×4, first 2 shown]
	v_fma_f64 v[0:1], v[0:1], -0.5, v[2:3]
	v_fma_f64 v[78:79], v[66:67], s[4:5], v[0:1]
	v_fma_f64 v[0:1], v[66:67], s[8:9], v[0:1]
	;; [unrolled: 1-line block ×3, first 2 shown]
	v_add_f64 v[78:79], v[56:57], -v[58:59]
	v_fma_f64 v[0:1], v[64:65], s[14:15], v[0:1]
	v_add_f64 v[78:79], v[78:79], v[102:103]
	v_fma_f64 v[104:105], v[78:79], s[6:7], v[0:1]
	v_add_f64 v[0:1], v[56:57], v[74:75]
	v_add_f64 v[56:57], v[58:59], -v[56:57]
	v_add_f64 v[58:59], v[72:73], -v[74:75]
	v_add_f64 v[72:73], v[48:49], -v[60:61]
	v_add_f64 v[74:75], v[70:71], -v[62:63]
	v_fma_f64 v[102:103], v[78:79], s[6:7], v[76:77]
	v_add_f64 v[76:77], v[62:63], -v[70:71]
	v_fma_f64 v[0:1], v[0:1], -0.5, v[2:3]
	v_add_f64 v[56:57], v[56:57], v[58:59]
	v_add_f64 v[58:59], v[52:53], -v[54:55]
	v_add_f64 v[72:73], v[72:73], v[74:75]
	v_fma_f64 v[2:3], v[64:65], s[8:9], v[0:1]
	v_fma_f64 v[0:1], v[64:65], s[4:5], v[0:1]
	;; [unrolled: 1-line block ×6, first 2 shown]
	v_add_f64 v[0:1], v[50:51], v[48:49]
	v_add_f64 v[2:3], v[44:45], -v[68:69]
	v_add_f64 v[0:1], v[0:1], v[60:61]
	v_add_f64 v[0:1], v[0:1], v[62:63]
	;; [unrolled: 1-line block ×4, first 2 shown]
	v_fma_f64 v[0:1], v[0:1], -0.5, v[50:51]
	v_fma_f64 v[56:57], v[2:3], s[8:9], v[0:1]
	v_fma_f64 v[0:1], v[2:3], s[4:5], v[0:1]
	;; [unrolled: 1-line block ×6, first 2 shown]
	v_add_f64 v[0:1], v[48:49], v[70:71]
	v_add_f64 v[56:57], v[60:61], -v[48:49]
	v_fma_f64 v[0:1], v[0:1], -0.5, v[50:51]
	v_add_f64 v[56:57], v[56:57], v[76:77]
	v_fma_f64 v[50:51], v[58:59], s[4:5], v[0:1]
	v_fma_f64 v[0:1], v[58:59], s[8:9], v[0:1]
	v_add_f64 v[58:59], v[44:45], -v[52:53]
	v_fma_f64 v[50:51], v[2:3], s[14:15], v[50:51]
	v_fma_f64 v[0:1], v[2:3], s[2:3], v[0:1]
	v_add_f64 v[2:3], v[48:49], -v[70:71]
	v_fma_f64 v[50:51], v[56:57], s[6:7], v[50:51]
	v_fma_f64 v[76:77], v[56:57], s[6:7], v[0:1]
	v_add_f64 v[0:1], v[46:47], v[44:45]
	v_add_f64 v[56:57], v[60:61], -v[62:63]
	v_add_f64 v[60:61], v[68:69], -v[54:55]
	v_add_f64 v[0:1], v[0:1], v[52:53]
	v_add_f64 v[58:59], v[58:59], v[60:61]
	;; [unrolled: 1-line block ×5, first 2 shown]
	v_fma_f64 v[0:1], v[0:1], -0.5, v[46:47]
	v_fma_f64 v[48:49], v[2:3], s[4:5], v[0:1]
	v_fma_f64 v[0:1], v[2:3], s[8:9], v[0:1]
	;; [unrolled: 1-line block ×6, first 2 shown]
	v_add_f64 v[0:1], v[44:45], v[68:69]
	v_add_f64 v[44:45], v[52:53], -v[44:45]
	v_add_f64 v[48:49], v[54:55], -v[68:69]
	v_fma_f64 v[0:1], v[0:1], -0.5, v[46:47]
	v_add_f64 v[44:45], v[44:45], v[48:49]
	v_fma_f64 v[46:47], v[56:57], s[8:9], v[0:1]
	v_fma_f64 v[0:1], v[56:57], s[4:5], v[0:1]
	;; [unrolled: 1-line block ×4, first 2 shown]
	v_mul_f64 v[2:3], v[60:61], s[14:15]
	v_fma_f64 v[54:55], v[44:45], s[6:7], v[46:47]
	v_fma_f64 v[68:69], v[44:45], s[6:7], v[0:1]
	v_fma_f64 v[70:71], v[74:75], s[16:17], v[2:3]
	v_mul_f64 v[46:47], v[60:61], s[16:17]
	v_add_f64 v[0:1], v[90:91], v[64:65]
	v_mul_f64 v[2:3], v[54:55], s[8:9]
	v_mul_f64 v[54:55], v[54:55], s[6:7]
	v_add_f64 v[44:45], v[96:97], v[70:71]
	v_fma_f64 v[74:75], v[74:75], s[2:3], v[46:47]
	v_fma_f64 v[108:109], v[50:51], s[6:7], v[2:3]
	v_mul_f64 v[2:3], v[68:69], s[8:9]
	v_fma_f64 v[114:115], v[50:51], s[4:5], v[54:55]
	v_mul_f64 v[50:51], v[68:69], s[18:19]
	v_add_f64 v[46:47], v[102:103], v[74:75]
	v_add_f64 v[74:75], v[102:103], -v[74:75]
	v_add_f64 v[56:57], v[100:101], v[108:109]
	v_fma_f64 v[110:111], v[76:77], s[18:19], v[2:3]
	v_mul_f64 v[2:3], v[62:63], s[14:15]
	v_fma_f64 v[116:117], v[76:77], s[4:5], v[50:51]
	v_mul_f64 v[50:51], v[62:63], s[20:21]
	v_add_f64 v[58:59], v[106:107], v[114:115]
	v_add_f64 v[76:77], v[90:91], -v[64:65]
	v_mov_b32_e32 v91, 4
	v_mul_u32_u24_e32 v90, 0x640, v132
	v_add_f64 v[52:53], v[94:95], v[110:111]
	v_fma_f64 v[112:113], v[72:73], s[20:21], v[2:3]
	v_add_f64 v[2:3], v[98:99], v[78:79]
	v_fma_f64 v[62:63], v[72:73], s[2:3], v[50:51]
	v_add_f64 v[54:55], v[66:67], v[116:117]
	v_lshlrev_b32_sdwa v91, v91, v129 dst_sel:DWORD dst_unused:UNUSED_PAD src0_sel:DWORD src1_sel:BYTE_0
	v_add_f64 v[78:79], v[98:99], -v[78:79]
	v_add3_u32 v90, 0, v90, v91
	v_add_f64 v[72:73], v[96:97], -v[70:71]
	v_add_f64 v[48:49], v[92:93], v[112:113]
	ds_write_b128 v90, v[4:7]
	ds_write_b128 v90, v[8:11] offset:160
	ds_write_b128 v90, v[12:15] offset:320
	;; [unrolled: 1-line block ×9, first 2 shown]
	v_add_f64 v[50:51], v[104:105], v[62:63]
	v_mul_u32_u24_e32 v4, 0x640, v130
	v_lshlrev_b32_e32 v5, 4, v131
	v_add_f64 v[68:69], v[100:101], -v[108:109]
	v_add_f64 v[70:71], v[106:107], -v[114:115]
	v_add3_u32 v4, 0, v4, v5
	s_movk_i32 s2, 0x64
	v_add_f64 v[64:65], v[94:95], -v[110:111]
	v_add_f64 v[60:61], v[92:93], -v[112:113]
	;; [unrolled: 1-line block ×4, first 2 shown]
	ds_write_b128 v4, v[0:3]
	ds_write_b128 v4, v[44:47] offset:160
	ds_write_b128 v4, v[56:59] offset:320
	;; [unrolled: 1-line block ×9, first 2 shown]
	v_add_u32_e32 v44, 0xffffff9c, v80
	v_cmp_gt_u32_e32 vcc, s2, v80
	v_cndmask_b32_e32 v56, v44, v80, vcc
	v_mul_i32_i24_e32 v44, 3, v56
	v_mov_b32_e32 v45, v81
	v_lshlrev_b64 v[44:45], 4, v[44:45]
	v_mov_b32_e32 v68, s13
	v_add_co_u32_e32 v44, vcc, s12, v44
	v_addc_co_u32_e32 v45, vcc, v68, v45, vcc
	s_waitcnt lgkmcnt(0)
	s_barrier
	ds_read_b128 v[16:19], v126
	ds_read_b128 v[46:49], v126 offset:12800
	ds_read_b128 v[57:60], v126 offset:25600
	;; [unrolled: 1-line block ×19, first 2 shown]
	global_load_dwordx4 v[106:109], v[44:45], off offset:1472
	global_load_dwordx4 v[110:113], v[44:45], off offset:1456
	;; [unrolled: 1-line block ×3, first 2 shown]
	s_movk_i32 s2, 0x63
	v_cmp_lt_u32_e32 vcc, s2, v80
	s_movk_i32 s2, 0x1860
	s_movk_i32 s3, 0x3660
	s_waitcnt vmcnt(0) lgkmcnt(14)
	v_mul_f64 v[44:45], v[48:49], v[52:53]
	v_fma_f64 v[44:45], v[46:47], v[50:51], v[44:45]
	v_mul_f64 v[46:47], v[46:47], v[52:53]
	v_fma_f64 v[46:47], v[48:49], v[50:51], -v[46:47]
	v_mul_f64 v[48:49], v[59:60], v[112:113]
	v_mul_f64 v[50:51], v[61:62], v[108:109]
	v_fma_f64 v[52:53], v[57:58], v[110:111], v[48:49]
	v_mul_f64 v[48:49], v[57:58], v[112:113]
	v_lshrrev_b16_e32 v57, 2, v128
	v_mul_u32_u24_e32 v57, 0x147b, v57
	v_lshrrev_b32_e32 v57, 17, v57
	v_mul_lo_u16_e32 v58, 0x64, v57
	v_sub_u16_e32 v58, v128, v58
	v_fma_f64 v[50:51], v[63:64], v[106:107], -v[50:51]
	v_fma_f64 v[54:55], v[59:60], v[110:111], -v[48:49]
	v_mul_f64 v[48:49], v[63:64], v[108:109]
	v_mul_u32_u24_e32 v59, 3, v58
	v_lshlrev_b32_e32 v67, 4, v59
	v_fma_f64 v[48:49], v[61:62], v[106:107], v[48:49]
	global_load_dwordx4 v[59:62], v67, s[12:13] offset:1472
	global_load_dwordx4 v[63:66], v67, s[12:13] offset:1456
	global_load_dwordx4 v[106:109], v67, s[12:13] offset:1440
	s_waitcnt vmcnt(0)
	v_mul_f64 v[77:78], v[71:72], v[108:109]
	v_fma_f64 v[77:78], v[69:70], v[106:107], v[77:78]
	v_mul_f64 v[69:70], v[69:70], v[108:109]
	v_fma_f64 v[106:107], v[71:72], v[106:107], -v[69:70]
	s_waitcnt lgkmcnt(13)
	v_mul_f64 v[69:70], v[75:76], v[65:66]
	v_mul_f64 v[65:66], v[73:74], v[65:66]
	v_fma_f64 v[108:109], v[73:74], v[63:64], v[69:70]
	v_fma_f64 v[110:111], v[75:76], v[63:64], -v[65:66]
	s_waitcnt lgkmcnt(12)
	v_mul_f64 v[63:64], v[92:93], v[61:62]
	v_mul_f64 v[61:62], v[90:91], v[61:62]
	v_fma_f64 v[112:113], v[90:91], v[59:60], v[63:64]
	v_fma_f64 v[90:91], v[92:93], v[59:60], -v[61:62]
	v_lshrrev_b16_e32 v59, 2, v127
	v_mul_u32_u24_e32 v59, 0x147b, v59
	v_lshrrev_b32_e32 v59, 17, v59
	v_mul_lo_u16_e32 v60, 0x64, v59
	v_sub_u16_e32 v60, v127, v60
	v_mul_u32_u24_e32 v61, 3, v60
	v_lshlrev_b32_e32 v65, 4, v61
	global_load_dwordx4 v[61:64], v65, s[12:13] offset:1472
	global_load_dwordx4 v[69:72], v65, s[12:13] offset:1456
	;; [unrolled: 1-line block ×3, first 2 shown]
	s_waitcnt vmcnt(0) lgkmcnt(10)
	v_mul_f64 v[65:66], v[96:97], v[75:76]
	v_fma_f64 v[92:93], v[94:95], v[73:74], v[65:66]
	v_mul_f64 v[65:66], v[94:95], v[75:76]
	v_fma_f64 v[94:95], v[96:97], v[73:74], -v[65:66]
	s_waitcnt lgkmcnt(9)
	v_mul_f64 v[65:66], v[100:101], v[71:72]
	v_fma_f64 v[96:97], v[98:99], v[69:70], v[65:66]
	v_mul_f64 v[65:66], v[98:99], v[71:72]
	v_fma_f64 v[98:99], v[100:101], v[69:70], -v[65:66]
	s_waitcnt lgkmcnt(8)
	v_mul_f64 v[65:66], v[104:105], v[63:64]
	v_mul_f64 v[63:64], v[102:103], v[63:64]
	v_fma_f64 v[100:101], v[102:103], v[61:62], v[65:66]
	v_fma_f64 v[102:103], v[104:105], v[61:62], -v[63:64]
	v_add_u16_e32 v62, 0x1e0, v80
	v_lshrrev_b16_e32 v61, 2, v62
	v_mul_u32_u24_e32 v61, 0x147b, v61
	v_lshrrev_b32_e32 v61, 17, v61
	v_mul_lo_u16_e32 v63, 0x64, v61
	v_sub_u16_e32 v62, v62, v63
	v_mul_u32_u24_e32 v63, 3, v62
	v_lshlrev_b32_e32 v67, 4, v63
	global_load_dwordx4 v[63:66], v67, s[12:13] offset:1472
	global_load_dwordx4 v[69:72], v67, s[12:13] offset:1456
	;; [unrolled: 1-line block ×3, first 2 shown]
	s_waitcnt vmcnt(0) lgkmcnt(6)
	v_mul_f64 v[104:105], v[42:43], v[75:76]
	v_fma_f64 v[104:105], v[40:41], v[73:74], v[104:105]
	v_mul_f64 v[40:41], v[40:41], v[75:76]
	v_fma_f64 v[73:74], v[42:43], v[73:74], -v[40:41]
	s_waitcnt lgkmcnt(5)
	v_mul_f64 v[40:41], v[38:39], v[71:72]
	v_fma_f64 v[75:76], v[36:37], v[69:70], v[40:41]
	v_mul_f64 v[36:37], v[36:37], v[71:72]
	v_fma_f64 v[69:70], v[38:39], v[69:70], -v[36:37]
	s_waitcnt lgkmcnt(4)
	v_mul_f64 v[36:37], v[34:35], v[65:66]
	v_fma_f64 v[71:72], v[32:33], v[63:64], v[36:37]
	v_mul_f64 v[32:33], v[32:33], v[65:66]
	v_fma_f64 v[114:115], v[34:35], v[63:64], -v[32:33]
	v_add_u16_e32 v33, 0x280, v80
	v_lshrrev_b16_e32 v32, 2, v33
	v_mul_u32_u24_e32 v32, 0x147b, v32
	v_lshrrev_b32_e32 v32, 17, v32
	v_mul_lo_u16_e32 v34, 0x64, v32
	v_sub_u16_e32 v33, v33, v34
	v_mul_u32_u24_e32 v34, 3, v33
	v_lshlrev_b32_e32 v42, 4, v34
	global_load_dwordx4 v[34:37], v42, s[12:13] offset:1472
	global_load_dwordx4 v[38:41], v42, s[12:13] offset:1456
	;; [unrolled: 1-line block ×3, first 2 shown]
	s_waitcnt vmcnt(0) lgkmcnt(0)
	s_barrier
	v_mul_f64 v[42:43], v[30:31], v[65:66]
	v_fma_f64 v[116:117], v[28:29], v[63:64], v[42:43]
	v_mul_f64 v[28:29], v[28:29], v[65:66]
	v_add_f64 v[42:43], v[12:13], -v[108:109]
	v_add_f64 v[65:66], v[10:11], -v[98:99]
	v_fma_f64 v[118:119], v[30:31], v[63:64], -v[28:29]
	v_mul_f64 v[28:29], v[26:27], v[40:41]
	v_add_f64 v[30:31], v[18:19], -v[54:55]
	v_add_f64 v[54:55], v[8:9], -v[96:97]
	v_fma_f64 v[120:121], v[24:25], v[38:39], v[28:29]
	v_mul_f64 v[24:25], v[24:25], v[40:41]
	v_add_f64 v[28:29], v[16:17], -v[52:53]
	v_add_f64 v[40:41], v[77:78], -v[112:113]
	v_add_f64 v[52:53], v[92:93], -v[100:101]
	v_fma_f64 v[122:123], v[26:27], v[38:39], -v[24:25]
	v_mul_f64 v[24:25], v[22:23], v[36:37]
	v_add_f64 v[26:27], v[44:45], -v[48:49]
	v_fma_f64 v[48:49], v[10:11], 2.0, -v[65:66]
	v_add_f64 v[38:39], v[106:107], -v[90:91]
	v_add_f64 v[90:91], v[104:105], -v[71:72]
	v_fma_f64 v[124:125], v[20:21], v[34:35], v[24:25]
	v_mul_f64 v[20:21], v[20:21], v[36:37]
	v_add_f64 v[24:25], v[46:47], -v[50:51]
	v_add_f64 v[50:51], v[94:95], -v[102:103]
	;; [unrolled: 1-line block ×3, first 2 shown]
	v_fma_f64 v[128:129], v[22:23], v[34:35], -v[20:21]
	v_fma_f64 v[22:23], v[18:19], 2.0, -v[30:31]
	v_fma_f64 v[18:19], v[46:47], 2.0, -v[24:25]
	;; [unrolled: 1-line block ×7, first 2 shown]
	v_add_f64 v[50:51], v[54:55], v[50:51]
	v_add_f64 v[77:78], v[6:7], -v[69:70]
	v_add_f64 v[92:93], v[73:74], -v[114:115]
	v_fma_f64 v[20:21], v[16:17], 2.0, -v[28:29]
	v_fma_f64 v[16:17], v[44:45], 2.0, -v[26:27]
	v_add_f64 v[44:45], v[14:15], -v[110:111]
	v_add_f64 v[98:99], v[118:119], -v[128:129]
	;; [unrolled: 1-line block ×3, first 2 shown]
	v_fma_f64 v[63:64], v[54:55], 2.0, -v[50:51]
	v_add_f64 v[54:55], v[4:5], -v[75:76]
	v_fma_f64 v[75:76], v[6:7], 2.0, -v[77:78]
	v_fma_f64 v[6:7], v[73:74], 2.0, -v[92:93]
	v_add_f64 v[16:17], v[20:21], -v[16:17]
	v_fma_f64 v[36:37], v[14:15], 2.0, -v[44:45]
	v_fma_f64 v[14:15], v[106:107], 2.0, -v[38:39]
	v_add_f64 v[24:25], v[28:29], v[24:25]
	v_add_f64 v[26:27], v[30:31], -v[26:27]
	v_add_f64 v[73:74], v[54:55], v[92:93]
	v_fma_f64 v[69:70], v[4:5], 2.0, -v[54:55]
	v_add_f64 v[6:7], v[75:76], -v[6:7]
	v_fma_f64 v[4:5], v[104:105], 2.0, -v[90:91]
	v_add_f64 v[12:13], v[34:35], -v[12:13]
	v_add_f64 v[14:15], v[36:37], -v[14:15]
	v_add_f64 v[38:39], v[42:43], v[38:39]
	v_add_f64 v[40:41], v[44:45], -v[40:41]
	v_add_f64 v[8:9], v[46:47], -v[8:9]
	;; [unrolled: 1-line block ×3, first 2 shown]
	v_fma_f64 v[71:72], v[75:76], 2.0, -v[6:7]
	v_add_f64 v[75:76], v[77:78], -v[90:91]
	v_fma_f64 v[90:91], v[54:55], 2.0, -v[73:74]
	v_add_f64 v[54:55], v[0:1], -v[120:121]
	v_add_f64 v[52:53], v[65:66], -v[52:53]
	v_fma_f64 v[20:21], v[20:21], 2.0, -v[16:17]
	v_fma_f64 v[22:23], v[22:23], 2.0, -v[18:19]
	v_add_f64 v[4:5], v[69:70], -v[4:5]
	v_fma_f64 v[28:29], v[28:29], 2.0, -v[24:25]
	v_fma_f64 v[92:93], v[77:78], 2.0, -v[75:76]
	;; [unrolled: 3-line block ×3, first 2 shown]
	v_fma_f64 v[30:31], v[30:31], 2.0, -v[26:27]
	v_fma_f64 v[34:35], v[34:35], 2.0, -v[12:13]
	v_fma_f64 v[36:37], v[36:37], 2.0, -v[14:15]
	v_fma_f64 v[42:43], v[42:43], 2.0, -v[38:39]
	v_fma_f64 v[44:45], v[44:45], 2.0, -v[40:41]
	v_fma_f64 v[96:97], v[2:3], 2.0, -v[77:78]
	v_fma_f64 v[2:3], v[118:119], 2.0, -v[98:99]
	v_add_f64 v[98:99], v[54:55], v[98:99]
	v_add_f64 v[0:1], v[94:95], -v[0:1]
	v_add_f64 v[100:101], v[77:78], -v[100:101]
	v_fma_f64 v[46:47], v[46:47], 2.0, -v[8:9]
	v_fma_f64 v[48:49], v[48:49], 2.0, -v[10:11]
	v_fma_f64 v[65:66], v[65:66], 2.0, -v[52:53]
	v_fma_f64 v[69:70], v[69:70], 2.0, -v[4:5]
	v_add_f64 v[2:3], v[96:97], -v[2:3]
	v_fma_f64 v[102:103], v[54:55], 2.0, -v[98:99]
	v_mov_b32_e32 v54, 0x1900
	v_cndmask_b32_e32 v54, 0, v54, vcc
	v_lshlrev_b32_e32 v55, 4, v56
	v_add3_u32 v54, 0, v54, v55
	ds_write_b128 v54, v[20:23]
	ds_write_b128 v54, v[28:31] offset:1600
	ds_write_b128 v54, v[16:19] offset:3200
	;; [unrolled: 1-line block ×3, first 2 shown]
	v_mul_u32_u24_e32 v16, 0x1900, v57
	v_lshlrev_b32_e32 v17, 4, v58
	v_add3_u32 v16, 0, v16, v17
	v_fma_f64 v[94:95], v[94:95], 2.0, -v[0:1]
	v_fma_f64 v[96:97], v[96:97], 2.0, -v[2:3]
	ds_write_b128 v16, v[34:37]
	ds_write_b128 v16, v[42:45] offset:1600
	ds_write_b128 v16, v[12:15] offset:3200
	;; [unrolled: 1-line block ×3, first 2 shown]
	v_mul_u32_u24_e32 v44, 3, v80
	v_fma_f64 v[104:105], v[77:78], 2.0, -v[100:101]
	v_lshlrev_b32_e32 v110, 4, v44
	v_mul_u32_u24_e32 v12, 0x1900, v59
	v_lshlrev_b32_e32 v13, 4, v60
	v_add_co_u32_e32 v77, vcc, s12, v110
	v_add3_u32 v12, 0, v12, v13
	v_addc_co_u32_e32 v78, vcc, 0, v68, vcc
	ds_write_b128 v12, v[46:49]
	ds_write_b128 v12, v[63:66] offset:1600
	ds_write_b128 v12, v[8:11] offset:3200
	ds_write_b128 v12, v[50:53] offset:4800
	v_mul_u32_u24_e32 v8, 0x1900, v61
	v_lshlrev_b32_e32 v9, 4, v62
	v_add_co_u32_e32 v44, vcc, s2, v77
	v_add3_u32 v8, 0, v8, v9
	v_addc_co_u32_e32 v45, vcc, 0, v78, vcc
	ds_write_b128 v8, v[69:72]
	ds_write_b128 v8, v[90:93] offset:1600
	ds_write_b128 v8, v[4:7] offset:3200
	ds_write_b128 v8, v[73:76] offset:4800
	;; [unrolled: 9-line block ×3, first 2 shown]
	s_waitcnt lgkmcnt(0)
	s_barrier
	ds_read_b128 v[16:19], v126
	ds_read_b128 v[46:49], v126 offset:12800
	ds_read_b128 v[54:57], v126 offset:25600
	;; [unrolled: 1-line block ×19, first 2 shown]
	global_load_dwordx4 v[50:53], v[66:67], off offset:2144
	global_load_dwordx4 v[102:105], v[44:45], off offset:32
	;; [unrolled: 1-line block ×3, first 2 shown]
	s_waitcnt vmcnt(2) lgkmcnt(14)
	v_mul_f64 v[44:45], v[48:49], v[52:53]
	v_fma_f64 v[44:45], v[46:47], v[50:51], v[44:45]
	v_mul_f64 v[46:47], v[46:47], v[52:53]
	v_fma_f64 v[46:47], v[48:49], v[50:51], -v[46:47]
	s_waitcnt vmcnt(0)
	v_mul_f64 v[48:49], v[56:57], v[108:109]
	v_mul_f64 v[50:51], v[58:59], v[104:105]
	v_fma_f64 v[52:53], v[54:55], v[106:107], v[48:49]
	v_mul_f64 v[48:49], v[54:55], v[108:109]
	v_fma_f64 v[50:51], v[60:61], v[102:103], -v[50:51]
	v_fma_f64 v[54:55], v[56:57], v[106:107], -v[48:49]
	v_mul_f64 v[48:49], v[60:61], v[104:105]
	v_add_co_u32_e32 v56, vcc, s3, v77
	v_addc_co_u32_e32 v57, vcc, 0, v78, vcc
	v_add_co_u32_e32 v66, vcc, s23, v77
	v_addc_co_u32_e32 v67, vcc, 0, v78, vcc
	v_fma_f64 v[48:49], v[58:59], v[102:103], v[48:49]
	global_load_dwordx4 v[58:61], v[66:67], off offset:1632
	global_load_dwordx4 v[102:105], v[56:57], off offset:32
	global_load_dwordx4 v[106:109], v[56:57], off offset:16
	s_movk_i32 s3, 0x50
	v_cmp_gt_u32_e32 vcc, s3, v80
	s_movk_i32 s3, 0x7000
	s_waitcnt vmcnt(2)
	v_mul_f64 v[56:57], v[64:65], v[60:61]
	v_mul_f64 v[60:61], v[62:63], v[60:61]
	v_fma_f64 v[56:57], v[62:63], v[58:59], v[56:57]
	v_fma_f64 v[58:59], v[64:65], v[58:59], -v[60:61]
	s_waitcnt vmcnt(0) lgkmcnt(13)
	v_mul_f64 v[60:61], v[71:72], v[108:109]
	s_waitcnt lgkmcnt(12)
	v_mul_f64 v[62:63], v[73:74], v[104:105]
	v_fma_f64 v[64:65], v[69:70], v[106:107], v[60:61]
	v_mul_f64 v[60:61], v[69:70], v[108:109]
	v_add_u32_e32 v69, 0xffffffb0, v80
	v_cndmask_b32_e32 v69, v69, v127, vcc
	v_mul_i32_i24_e32 v70, 3, v69
	v_fma_f64 v[62:63], v[75:76], v[102:103], -v[62:63]
	v_fma_f64 v[66:67], v[71:72], v[106:107], -v[60:61]
	v_mov_b32_e32 v71, v81
	v_mul_f64 v[60:61], v[75:76], v[104:105]
	v_lshlrev_b64 v[70:71], 4, v[70:71]
	v_add_co_u32_e32 v70, vcc, s12, v70
	v_addc_co_u32_e32 v71, vcc, v68, v71, vcc
	v_add_co_u32_e32 v78, vcc, s2, v70
	v_addc_co_u32_e32 v79, vcc, 0, v71, vcc
	;; [unrolled: 2-line block ×3, first 2 shown]
	v_fma_f64 v[60:61], v[73:74], v[102:103], v[60:61]
	global_load_dwordx4 v[70:73], v[106:107], off offset:2144
	global_load_dwordx4 v[74:77], v[78:79], off offset:32
	global_load_dwordx4 v[102:105], v[78:79], off offset:16
	s_waitcnt vmcnt(2) lgkmcnt(10)
	v_mul_f64 v[78:79], v[92:93], v[72:73]
	v_mul_f64 v[72:73], v[90:91], v[72:73]
	v_fma_f64 v[78:79], v[90:91], v[70:71], v[78:79]
	v_fma_f64 v[106:107], v[92:93], v[70:71], -v[72:73]
	s_waitcnt vmcnt(0) lgkmcnt(9)
	v_mul_f64 v[70:71], v[96:97], v[104:105]
	v_fma_f64 v[108:109], v[94:95], v[102:103], v[70:71]
	v_mul_f64 v[70:71], v[94:95], v[104:105]
	v_fma_f64 v[94:95], v[96:97], v[102:103], -v[70:71]
	s_waitcnt lgkmcnt(8)
	v_mul_f64 v[70:71], v[100:101], v[76:77]
	v_fma_f64 v[96:97], v[98:99], v[74:75], v[70:71]
	v_mul_f64 v[70:71], v[98:99], v[76:77]
	v_fma_f64 v[98:99], v[100:101], v[74:75], -v[70:71]
	v_add_u32_e32 v70, 0xf00, v110
	v_add_co_u32_e32 v70, vcc, s12, v70
	v_addc_co_u32_e32 v71, vcc, 0, v68, vcc
	v_add_co_u32_e32 v100, vcc, s2, v70
	v_addc_co_u32_e32 v101, vcc, 0, v71, vcc
	;; [unrolled: 2-line block ×3, first 2 shown]
	global_load_dwordx4 v[70:73], v[102:103], off offset:2144
	global_load_dwordx4 v[74:77], v[100:101], off offset:32
	;; [unrolled: 1-line block ×3, first 2 shown]
	s_waitcnt vmcnt(2) lgkmcnt(6)
	v_mul_f64 v[100:101], v[42:43], v[72:73]
	v_fma_f64 v[100:101], v[40:41], v[70:71], v[100:101]
	v_mul_f64 v[40:41], v[40:41], v[72:73]
	v_fma_f64 v[70:71], v[42:43], v[70:71], -v[40:41]
	s_waitcnt vmcnt(0) lgkmcnt(5)
	v_mul_f64 v[40:41], v[38:39], v[92:93]
	v_fma_f64 v[72:73], v[36:37], v[90:91], v[40:41]
	v_mul_f64 v[36:37], v[36:37], v[92:93]
	v_fma_f64 v[90:91], v[38:39], v[90:91], -v[36:37]
	s_waitcnt lgkmcnt(4)
	v_mul_f64 v[36:37], v[34:35], v[76:77]
	v_fma_f64 v[92:93], v[32:33], v[74:75], v[36:37]
	v_mul_f64 v[32:33], v[32:33], v[76:77]
	v_fma_f64 v[74:75], v[34:35], v[74:75], -v[32:33]
	v_add_u32_e32 v32, 0x2d00, v110
	v_add_co_u32_e32 v32, vcc, s12, v32
	v_addc_co_u32_e32 v33, vcc, 0, v68, vcc
	v_add_co_u32_e32 v76, vcc, s2, v32
	v_addc_co_u32_e32 v77, vcc, 0, v33, vcc
	;; [unrolled: 2-line block ×3, first 2 shown]
	global_load_dwordx4 v[32:35], v[102:103], off offset:2144
	global_load_dwordx4 v[36:39], v[76:77], off offset:32
	global_load_dwordx4 v[40:43], v[76:77], off offset:16
	s_movk_i32 s2, 0x4f
	s_waitcnt vmcnt(0) lgkmcnt(0)
	s_barrier
	v_cmp_lt_u32_e32 vcc, s2, v80
	s_movk_i32 s2, 0x6000
	v_mul_f64 v[76:77], v[30:31], v[34:35]
	v_fma_f64 v[76:77], v[28:29], v[32:33], v[76:77]
	v_mul_f64 v[28:29], v[28:29], v[34:35]
	v_fma_f64 v[102:103], v[30:31], v[32:33], -v[28:29]
	v_mul_f64 v[28:29], v[26:27], v[42:43]
	v_add_f64 v[30:31], v[18:19], -v[54:55]
	v_add_f64 v[54:55], v[10:11], -v[94:95]
	v_fma_f64 v[104:105], v[24:25], v[40:41], v[28:29]
	v_mul_f64 v[24:25], v[24:25], v[42:43]
	v_add_f64 v[28:29], v[16:17], -v[52:53]
	v_add_f64 v[52:53], v[8:9], -v[108:109]
	;; [unrolled: 1-line block ×4, first 2 shown]
	v_fma_f64 v[110:111], v[26:27], v[40:41], -v[24:25]
	v_mul_f64 v[24:25], v[22:23], v[38:39]
	v_add_f64 v[26:27], v[44:45], -v[48:49]
	v_add_f64 v[48:49], v[106:107], -v[98:99]
	;; [unrolled: 1-line block ×4, first 2 shown]
	v_fma_f64 v[34:35], v[14:15], 2.0, -v[42:43]
	v_fma_f64 v[112:113], v[20:21], v[36:37], v[24:25]
	v_mul_f64 v[20:21], v[20:21], v[38:39]
	v_add_f64 v[24:25], v[46:47], -v[50:51]
	v_add_f64 v[50:51], v[78:79], -v[96:97]
	;; [unrolled: 1-line block ×4, first 2 shown]
	v_fma_f64 v[32:33], v[12:13], 2.0, -v[40:41]
	v_add_f64 v[90:91], v[76:77], -v[112:113]
	v_fma_f64 v[114:115], v[22:23], v[36:37], -v[20:21]
	v_add_f64 v[36:37], v[58:59], -v[62:63]
	v_add_f64 v[62:63], v[100:101], -v[92:93]
	v_fma_f64 v[20:21], v[16:17], 2.0, -v[28:29]
	v_fma_f64 v[22:23], v[18:19], 2.0, -v[30:31]
	;; [unrolled: 1-line block ×8, first 2 shown]
	v_add_f64 v[78:79], v[0:1], -v[104:105]
	v_add_f64 v[92:93], v[2:3], -v[110:111]
	;; [unrolled: 1-line block ×3, first 2 shown]
	v_fma_f64 v[12:13], v[56:57], 2.0, -v[38:39]
	v_fma_f64 v[14:15], v[58:59], 2.0, -v[36:37]
	v_fma_f64 v[56:57], v[4:5], 2.0, -v[64:65]
	v_fma_f64 v[58:59], v[6:7], 2.0, -v[66:67]
	v_fma_f64 v[4:5], v[100:101], 2.0, -v[62:63]
	v_fma_f64 v[6:7], v[70:71], 2.0, -v[60:61]
	v_add_f64 v[16:17], v[20:21], -v[16:17]
	v_add_f64 v[18:19], v[22:23], -v[18:19]
	v_add_f64 v[24:25], v[28:29], v[24:25]
	v_add_f64 v[26:27], v[30:31], -v[26:27]
	v_add_f64 v[8:9], v[44:45], -v[8:9]
	;; [unrolled: 1-line block ×3, first 2 shown]
	v_fma_f64 v[70:71], v[0:1], 2.0, -v[78:79]
	v_fma_f64 v[72:73], v[2:3], 2.0, -v[92:93]
	;; [unrolled: 1-line block ×4, first 2 shown]
	v_add_f64 v[12:13], v[32:33], -v[12:13]
	v_add_f64 v[14:15], v[34:35], -v[14:15]
	v_add_f64 v[48:49], v[52:53], v[48:49]
	v_add_f64 v[50:51], v[54:55], -v[50:51]
	v_add_f64 v[36:37], v[40:41], v[36:37]
	v_add_f64 v[38:39], v[42:43], -v[38:39]
	v_add_f64 v[4:5], v[56:57], -v[4:5]
	;; [unrolled: 1-line block ×3, first 2 shown]
	v_fma_f64 v[20:21], v[20:21], 2.0, -v[16:17]
	v_fma_f64 v[22:23], v[22:23], 2.0, -v[18:19]
	v_add_f64 v[60:61], v[64:65], v[60:61]
	v_add_f64 v[62:63], v[66:67], -v[62:63]
	v_fma_f64 v[28:29], v[28:29], 2.0, -v[24:25]
	v_fma_f64 v[30:31], v[30:31], 2.0, -v[26:27]
	;; [unrolled: 1-line block ×4, first 2 shown]
	v_add_f64 v[0:1], v[70:71], -v[0:1]
	v_add_f64 v[2:3], v[72:73], -v[2:3]
	v_add_f64 v[74:75], v[78:79], v[74:75]
	v_add_f64 v[76:77], v[92:93], -v[90:91]
	v_fma_f64 v[32:33], v[32:33], 2.0, -v[12:13]
	v_fma_f64 v[34:35], v[34:35], 2.0, -v[14:15]
	v_fma_f64 v[52:53], v[52:53], 2.0, -v[48:49]
	v_fma_f64 v[54:55], v[54:55], 2.0, -v[50:51]
	v_fma_f64 v[40:41], v[40:41], 2.0, -v[36:37]
	v_fma_f64 v[42:43], v[42:43], 2.0, -v[38:39]
	v_fma_f64 v[56:57], v[56:57], 2.0, -v[4:5]
	v_fma_f64 v[58:59], v[58:59], 2.0, -v[6:7]
	v_fma_f64 v[64:65], v[64:65], 2.0, -v[60:61]
	v_fma_f64 v[66:67], v[66:67], 2.0, -v[62:63]
	ds_write_b128 v126, v[20:23]
	ds_write_b128 v126, v[28:31] offset:6400
	ds_write_b128 v126, v[16:19] offset:12800
	;; [unrolled: 1-line block ×7, first 2 shown]
	v_mov_b32_e32 v12, 0x6400
	v_cndmask_b32_e32 v12, 0, v12, vcc
	v_lshlrev_b32_e32 v13, 4, v69
	v_add3_u32 v12, 0, v12, v13
	v_fma_f64 v[70:71], v[70:71], 2.0, -v[0:1]
	v_fma_f64 v[72:73], v[72:73], 2.0, -v[2:3]
	;; [unrolled: 1-line block ×4, first 2 shown]
	ds_write_b128 v12, v[44:47]
	ds_write_b128 v12, v[52:55] offset:6400
	ds_write_b128 v12, v[8:11] offset:12800
	;; [unrolled: 1-line block ×11, first 2 shown]
	v_add_co_u32_e32 v77, vcc, s12, v84
	v_addc_co_u32_e32 v78, vcc, v68, v85, vcc
	v_add_co_u32_e32 v77, vcc, s2, v77
	v_addc_co_u32_e32 v78, vcc, 0, v78, vcc
	s_waitcnt lgkmcnt(0)
	s_barrier
	ds_read_b128 v[36:39], v126
	ds_read_b128 v[44:47], v126 offset:25600
	ds_read_b128 v[32:35], v126 offset:2560
	;; [unrolled: 1-line block ×19, first 2 shown]
	global_load_dwordx4 v[94:97], v[77:78], off offset:864
	v_add_co_u32_e32 v79, vcc, s12, v86
	s_waitcnt vmcnt(0) lgkmcnt(14)
	v_mul_f64 v[77:78], v[46:47], v[96:97]
	v_fma_f64 v[77:78], v[44:45], v[94:95], v[77:78]
	v_mul_f64 v[44:45], v[44:45], v[96:97]
	v_addc_co_u32_e32 v96, vcc, v68, v87, vcc
	v_fma_f64 v[84:85], v[46:47], v[94:95], -v[44:45]
	v_add_co_u32_e32 v44, vcc, s2, v79
	v_addc_co_u32_e32 v45, vcc, 0, v96, vcc
	global_load_dwordx4 v[44:47], v[44:45], off offset:3424
	s_waitcnt vmcnt(0)
	v_mul_f64 v[86:87], v[50:51], v[46:47]
	v_mul_f64 v[46:47], v[48:49], v[46:47]
	v_fma_f64 v[86:87], v[48:49], v[44:45], v[86:87]
	v_fma_f64 v[48:49], v[50:51], v[44:45], -v[46:47]
	v_add_co_u32_e32 v44, vcc, s3, v79
	v_addc_co_u32_e32 v45, vcc, 0, v96, vcc
	global_load_dwordx4 v[44:47], v[44:45], off offset:1888
	s_mov_b32 s3, 0x8000
	s_waitcnt vmcnt(0)
	v_mul_f64 v[50:51], v[54:55], v[46:47]
	v_mul_f64 v[46:47], v[52:53], v[46:47]
	v_fma_f64 v[50:51], v[52:53], v[44:45], v[50:51]
	v_fma_f64 v[52:53], v[54:55], v[44:45], -v[46:47]
	v_add_co_u32_e32 v54, vcc, s3, v79
	v_addc_co_u32_e32 v55, vcc, 0, v96, vcc
	global_load_dwordx4 v[44:47], v[54:55], off offset:352
	s_mov_b32 s3, 0x9000
	s_waitcnt vmcnt(0) lgkmcnt(12)
	v_mul_f64 v[94:95], v[58:59], v[46:47]
	v_mul_f64 v[46:47], v[56:57], v[46:47]
	v_fma_f64 v[94:95], v[56:57], v[44:45], v[94:95]
	v_fma_f64 v[56:57], v[58:59], v[44:45], -v[46:47]
	global_load_dwordx4 v[44:47], v[54:55], off offset:2912
	s_waitcnt vmcnt(0) lgkmcnt(10)
	v_mul_f64 v[54:55], v[62:63], v[46:47]
	v_mul_f64 v[46:47], v[60:61], v[46:47]
	v_fma_f64 v[58:59], v[60:61], v[44:45], v[54:55]
	v_add_co_u32_e32 v54, vcc, s3, v79
	v_addc_co_u32_e32 v55, vcc, 0, v96, vcc
	v_fma_f64 v[60:61], v[62:63], v[44:45], -v[46:47]
	global_load_dwordx4 v[44:47], v[54:55], off offset:1376
	s_mov_b32 s3, 0xa000
	s_waitcnt vmcnt(0) lgkmcnt(8)
	v_mul_f64 v[62:63], v[66:67], v[46:47]
	v_mul_f64 v[46:47], v[64:65], v[46:47]
	v_fma_f64 v[62:63], v[64:65], v[44:45], v[62:63]
	v_fma_f64 v[64:65], v[66:67], v[44:45], -v[46:47]
	global_load_dwordx4 v[44:47], v[54:55], off offset:3936
	s_waitcnt vmcnt(0) lgkmcnt(6)
	v_mul_f64 v[54:55], v[71:72], v[46:47]
	v_mul_f64 v[46:47], v[69:70], v[46:47]
	v_fma_f64 v[66:67], v[69:70], v[44:45], v[54:55]
	v_fma_f64 v[69:70], v[71:72], v[44:45], -v[46:47]
	v_add_co_u32_e32 v44, vcc, s3, v79
	v_addc_co_u32_e32 v45, vcc, 0, v96, vcc
	global_load_dwordx4 v[44:47], v[44:45], off offset:2400
	s_waitcnt vmcnt(0) lgkmcnt(4)
	v_mul_f64 v[54:55], v[75:76], v[46:47]
	v_mul_f64 v[46:47], v[73:74], v[46:47]
	v_fma_f64 v[71:72], v[73:74], v[44:45], v[54:55]
	v_fma_f64 v[73:74], v[75:76], v[44:45], -v[46:47]
	v_add_co_u32_e32 v44, vcc, s12, v88
	v_addc_co_u32_e32 v45, vcc, v68, v89, vcc
	v_add_co_u32_e32 v44, vcc, s2, v44
	v_addc_co_u32_e32 v45, vcc, 0, v45, vcc
	global_load_dwordx4 v[44:47], v[44:45], off offset:864
	s_mov_b32 s2, 0xb000
	s_waitcnt vmcnt(0) lgkmcnt(2)
	v_mul_f64 v[54:55], v[92:93], v[46:47]
	v_mul_f64 v[46:47], v[90:91], v[46:47]
	v_fma_f64 v[75:76], v[90:91], v[44:45], v[54:55]
	v_fma_f64 v[88:89], v[92:93], v[44:45], -v[46:47]
	v_add_co_u32_e32 v44, vcc, s2, v79
	v_addc_co_u32_e32 v45, vcc, 0, v96, vcc
	global_load_dwordx4 v[44:47], v[44:45], off offset:3424
	s_waitcnt vmcnt(0) lgkmcnt(0)
	s_barrier
	v_mul_f64 v[54:55], v[42:43], v[46:47]
	v_fma_f64 v[90:91], v[40:41], v[44:45], v[54:55]
	v_mul_f64 v[40:41], v[40:41], v[46:47]
	v_add_f64 v[46:47], v[34:35], -v[48:49]
	v_add_f64 v[48:49], v[28:29], -v[50:51]
	;; [unrolled: 1-line block ×7, first 2 shown]
	v_fma_f64 v[92:93], v[42:43], v[44:45], -v[40:41]
	v_add_f64 v[40:41], v[36:37], -v[77:78]
	v_add_f64 v[42:43], v[38:39], -v[84:85]
	;; [unrolled: 1-line block ×8, first 2 shown]
	v_fma_f64 v[36:37], v[36:37], 2.0, -v[40:41]
	v_fma_f64 v[38:39], v[38:39], 2.0, -v[42:43]
	v_add_f64 v[70:71], v[10:11], -v[73:74]
	v_add_f64 v[72:73], v[4:5], -v[75:76]
	;; [unrolled: 1-line block ×5, first 2 shown]
	v_fma_f64 v[32:33], v[32:33], 2.0, -v[44:45]
	v_fma_f64 v[34:35], v[34:35], 2.0, -v[46:47]
	v_fma_f64 v[28:29], v[28:29], 2.0, -v[48:49]
	v_fma_f64 v[30:31], v[30:31], 2.0, -v[50:51]
	v_fma_f64 v[24:25], v[24:25], 2.0, -v[52:53]
	v_fma_f64 v[26:27], v[26:27], 2.0, -v[54:55]
	v_fma_f64 v[20:21], v[20:21], 2.0, -v[56:57]
	v_fma_f64 v[22:23], v[22:23], 2.0, -v[58:59]
	v_fma_f64 v[16:17], v[16:17], 2.0, -v[60:61]
	v_fma_f64 v[18:19], v[18:19], 2.0, -v[62:63]
	v_fma_f64 v[12:13], v[12:13], 2.0, -v[64:65]
	v_fma_f64 v[14:15], v[14:15], 2.0, -v[66:67]
	v_fma_f64 v[8:9], v[8:9], 2.0, -v[68:69]
	v_fma_f64 v[10:11], v[10:11], 2.0, -v[70:71]
	v_fma_f64 v[4:5], v[4:5], 2.0, -v[72:73]
	v_fma_f64 v[6:7], v[6:7], 2.0, -v[74:75]
	v_fma_f64 v[0:1], v[0:1], 2.0, -v[76:77]
	v_fma_f64 v[2:3], v[2:3], 2.0, -v[78:79]
	ds_write_b128 v126, v[36:39]
	ds_write_b128 v126, v[40:43] offset:25600
	ds_write_b128 v126, v[32:35] offset:2560
	;; [unrolled: 1-line block ×19, first 2 shown]
	s_waitcnt lgkmcnt(0)
	s_barrier
	s_and_saveexec_b64 s[2:3], s[0:1]
	s_cbranch_execz .LBB0_19
; %bb.18:
	v_lshl_add_u32 v14, v80, 4, 0
	ds_read_b128 v[0:3], v14
	v_mov_b32_e32 v4, s11
	v_add_co_u32_e32 v15, vcc, s10, v82
	v_addc_co_u32_e32 v16, vcc, v4, v83, vcc
	v_lshlrev_b64 v[4:5], 4, v[80:81]
	v_add_co_u32_e32 v8, vcc, v15, v4
	v_addc_co_u32_e32 v9, vcc, v16, v5, vcc
	ds_read_b128 v[4:7], v14 offset:48640
	s_waitcnt lgkmcnt(1)
	global_store_dwordx4 v[8:9], v[0:3], off
	v_add_u32_e32 v8, 0xa0, v80
	v_mov_b32_e32 v9, v81
	ds_read_b128 v[0:3], v14 offset:2560
	v_lshlrev_b64 v[8:9], 4, v[8:9]
	v_add_co_u32_e32 v12, vcc, v15, v8
	v_addc_co_u32_e32 v13, vcc, v16, v9, vcc
	ds_read_b128 v[8:11], v14 offset:5120
	s_waitcnt lgkmcnt(1)
	global_store_dwordx4 v[12:13], v[0:3], off
	s_nop 0
	v_add_u32_e32 v0, 0x140, v80
	v_mov_b32_e32 v1, v81
	v_lshlrev_b64 v[0:1], 4, v[0:1]
	v_add_co_u32_e32 v0, vcc, v15, v0
	v_addc_co_u32_e32 v1, vcc, v16, v1, vcc
	s_waitcnt lgkmcnt(0)
	global_store_dwordx4 v[0:1], v[8:11], off
	ds_read_b128 v[0:3], v14 offset:7680
	v_add_u32_e32 v8, 0x1e0, v80
	v_mov_b32_e32 v9, v81
	v_lshlrev_b64 v[8:9], 4, v[8:9]
	v_add_co_u32_e32 v12, vcc, v15, v8
	v_addc_co_u32_e32 v13, vcc, v16, v9, vcc
	ds_read_b128 v[8:11], v14 offset:10240
	s_waitcnt lgkmcnt(1)
	global_store_dwordx4 v[12:13], v[0:3], off
	s_nop 0
	v_add_u32_e32 v0, 0x280, v80
	v_mov_b32_e32 v1, v81
	v_lshlrev_b64 v[0:1], 4, v[0:1]
	v_add_co_u32_e32 v0, vcc, v15, v0
	v_addc_co_u32_e32 v1, vcc, v16, v1, vcc
	s_waitcnt lgkmcnt(0)
	global_store_dwordx4 v[0:1], v[8:11], off
	ds_read_b128 v[0:3], v14 offset:12800
	v_add_u32_e32 v8, 0x320, v80
	v_mov_b32_e32 v9, v81
	;; [unrolled: 17-line block ×8, first 2 shown]
	v_lshlrev_b64 v[8:9], 4, v[8:9]
	v_add_co_u32_e32 v12, vcc, v15, v8
	v_addc_co_u32_e32 v13, vcc, v16, v9, vcc
	ds_read_b128 v[8:11], v14 offset:46080
	s_waitcnt lgkmcnt(1)
	global_store_dwordx4 v[12:13], v[0:3], off
	s_nop 0
	v_add_u32_e32 v0, 0xb40, v80
	v_mov_b32_e32 v1, v81
	v_lshlrev_b64 v[0:1], 4, v[0:1]
	v_add_u32_e32 v80, 0xbe0, v80
	v_add_co_u32_e32 v0, vcc, v15, v0
	v_addc_co_u32_e32 v1, vcc, v16, v1, vcc
	s_waitcnt lgkmcnt(0)
	global_store_dwordx4 v[0:1], v[8:11], off
	v_lshlrev_b64 v[0:1], 4, v[80:81]
	v_add_co_u32_e32 v0, vcc, v15, v0
	v_addc_co_u32_e32 v1, vcc, v16, v1, vcc
	global_store_dwordx4 v[0:1], v[4:7], off
.LBB0_19:
	s_endpgm
	.section	.rodata,"a",@progbits
	.p2align	6, 0x0
	.amdhsa_kernel fft_rtc_back_len3200_factors_10_10_4_4_2_wgs_160_tpt_160_halfLds_dp_ip_CI_unitstride_sbrr_C2R_dirReg
		.amdhsa_group_segment_fixed_size 0
		.amdhsa_private_segment_fixed_size 0
		.amdhsa_kernarg_size 88
		.amdhsa_user_sgpr_count 6
		.amdhsa_user_sgpr_private_segment_buffer 1
		.amdhsa_user_sgpr_dispatch_ptr 0
		.amdhsa_user_sgpr_queue_ptr 0
		.amdhsa_user_sgpr_kernarg_segment_ptr 1
		.amdhsa_user_sgpr_dispatch_id 0
		.amdhsa_user_sgpr_flat_scratch_init 0
		.amdhsa_user_sgpr_private_segment_size 0
		.amdhsa_uses_dynamic_stack 0
		.amdhsa_system_sgpr_private_segment_wavefront_offset 0
		.amdhsa_system_sgpr_workgroup_id_x 1
		.amdhsa_system_sgpr_workgroup_id_y 0
		.amdhsa_system_sgpr_workgroup_id_z 0
		.amdhsa_system_sgpr_workgroup_info 0
		.amdhsa_system_vgpr_workitem_id 0
		.amdhsa_next_free_vgpr 133
		.amdhsa_next_free_sgpr 25
		.amdhsa_reserve_vcc 1
		.amdhsa_reserve_flat_scratch 0
		.amdhsa_float_round_mode_32 0
		.amdhsa_float_round_mode_16_64 0
		.amdhsa_float_denorm_mode_32 3
		.amdhsa_float_denorm_mode_16_64 3
		.amdhsa_dx10_clamp 1
		.amdhsa_ieee_mode 1
		.amdhsa_fp16_overflow 0
		.amdhsa_exception_fp_ieee_invalid_op 0
		.amdhsa_exception_fp_denorm_src 0
		.amdhsa_exception_fp_ieee_div_zero 0
		.amdhsa_exception_fp_ieee_overflow 0
		.amdhsa_exception_fp_ieee_underflow 0
		.amdhsa_exception_fp_ieee_inexact 0
		.amdhsa_exception_int_div_zero 0
	.end_amdhsa_kernel
	.text
.Lfunc_end0:
	.size	fft_rtc_back_len3200_factors_10_10_4_4_2_wgs_160_tpt_160_halfLds_dp_ip_CI_unitstride_sbrr_C2R_dirReg, .Lfunc_end0-fft_rtc_back_len3200_factors_10_10_4_4_2_wgs_160_tpt_160_halfLds_dp_ip_CI_unitstride_sbrr_C2R_dirReg
                                        ; -- End function
	.section	.AMDGPU.csdata,"",@progbits
; Kernel info:
; codeLenInByte = 16108
; NumSgprs: 29
; NumVgprs: 133
; ScratchSize: 0
; MemoryBound: 0
; FloatMode: 240
; IeeeMode: 1
; LDSByteSize: 0 bytes/workgroup (compile time only)
; SGPRBlocks: 3
; VGPRBlocks: 33
; NumSGPRsForWavesPerEU: 29
; NumVGPRsForWavesPerEU: 133
; Occupancy: 1
; WaveLimiterHint : 1
; COMPUTE_PGM_RSRC2:SCRATCH_EN: 0
; COMPUTE_PGM_RSRC2:USER_SGPR: 6
; COMPUTE_PGM_RSRC2:TRAP_HANDLER: 0
; COMPUTE_PGM_RSRC2:TGID_X_EN: 1
; COMPUTE_PGM_RSRC2:TGID_Y_EN: 0
; COMPUTE_PGM_RSRC2:TGID_Z_EN: 0
; COMPUTE_PGM_RSRC2:TIDIG_COMP_CNT: 0
	.type	__hip_cuid_30b1d28a08a0580c,@object ; @__hip_cuid_30b1d28a08a0580c
	.section	.bss,"aw",@nobits
	.globl	__hip_cuid_30b1d28a08a0580c
__hip_cuid_30b1d28a08a0580c:
	.byte	0                               ; 0x0
	.size	__hip_cuid_30b1d28a08a0580c, 1

	.ident	"AMD clang version 19.0.0git (https://github.com/RadeonOpenCompute/llvm-project roc-6.4.0 25133 c7fe45cf4b819c5991fe208aaa96edf142730f1d)"
	.section	".note.GNU-stack","",@progbits
	.addrsig
	.addrsig_sym __hip_cuid_30b1d28a08a0580c
	.amdgpu_metadata
---
amdhsa.kernels:
  - .args:
      - .actual_access:  read_only
        .address_space:  global
        .offset:         0
        .size:           8
        .value_kind:     global_buffer
      - .offset:         8
        .size:           8
        .value_kind:     by_value
      - .actual_access:  read_only
        .address_space:  global
        .offset:         16
        .size:           8
        .value_kind:     global_buffer
      - .actual_access:  read_only
        .address_space:  global
        .offset:         24
        .size:           8
        .value_kind:     global_buffer
      - .offset:         32
        .size:           8
        .value_kind:     by_value
      - .actual_access:  read_only
        .address_space:  global
        .offset:         40
        .size:           8
        .value_kind:     global_buffer
      - .actual_access:  read_only
        .address_space:  global
        .offset:         48
        .size:           8
        .value_kind:     global_buffer
      - .offset:         56
        .size:           4
        .value_kind:     by_value
      - .actual_access:  read_only
        .address_space:  global
        .offset:         64
        .size:           8
        .value_kind:     global_buffer
      - .actual_access:  read_only
        .address_space:  global
        .offset:         72
        .size:           8
        .value_kind:     global_buffer
      - .address_space:  global
        .offset:         80
        .size:           8
        .value_kind:     global_buffer
    .group_segment_fixed_size: 0
    .kernarg_segment_align: 8
    .kernarg_segment_size: 88
    .language:       OpenCL C
    .language_version:
      - 2
      - 0
    .max_flat_workgroup_size: 160
    .name:           fft_rtc_back_len3200_factors_10_10_4_4_2_wgs_160_tpt_160_halfLds_dp_ip_CI_unitstride_sbrr_C2R_dirReg
    .private_segment_fixed_size: 0
    .sgpr_count:     29
    .sgpr_spill_count: 0
    .symbol:         fft_rtc_back_len3200_factors_10_10_4_4_2_wgs_160_tpt_160_halfLds_dp_ip_CI_unitstride_sbrr_C2R_dirReg.kd
    .uniform_work_group_size: 1
    .uses_dynamic_stack: false
    .vgpr_count:     133
    .vgpr_spill_count: 0
    .wavefront_size: 64
amdhsa.target:   amdgcn-amd-amdhsa--gfx906
amdhsa.version:
  - 1
  - 2
...

	.end_amdgpu_metadata
